;; amdgpu-corpus repo=ROCm/composable_kernel kind=compiled arch=gfx1100 opt=O3
	.text
	.amdgcn_target "amdgcn-amd-amdhsa--gfx1100"
	.amdhsa_code_object_version 6
	.section	.text._ZN2ckL12flush_icacheEv,"axG",@progbits,_ZN2ckL12flush_icacheEv,comdat
	.globl	_ZN2ckL12flush_icacheEv         ; -- Begin function _ZN2ckL12flush_icacheEv
	.p2align	8
	.type	_ZN2ckL12flush_icacheEv,@function
_ZN2ckL12flush_icacheEv:                ; @_ZN2ckL12flush_icacheEv
; %bb.0:
	;;#ASMSTART
	s_icache_inv 
	s_nop 0 
	s_nop 0 
	;; [unrolled: 1-line block ×16, first 2 shown]
	
	;;#ASMEND
	s_endpgm
	.section	.rodata,"a",@progbits
	.p2align	6, 0x0
	.amdhsa_kernel _ZN2ckL12flush_icacheEv
		.amdhsa_group_segment_fixed_size 0
		.amdhsa_private_segment_fixed_size 0
		.amdhsa_kernarg_size 0
		.amdhsa_user_sgpr_count 15
		.amdhsa_user_sgpr_dispatch_ptr 0
		.amdhsa_user_sgpr_queue_ptr 0
		.amdhsa_user_sgpr_kernarg_segment_ptr 0
		.amdhsa_user_sgpr_dispatch_id 0
		.amdhsa_user_sgpr_private_segment_size 0
		.amdhsa_wavefront_size32 1
		.amdhsa_uses_dynamic_stack 0
		.amdhsa_enable_private_segment 0
		.amdhsa_system_sgpr_workgroup_id_x 1
		.amdhsa_system_sgpr_workgroup_id_y 0
		.amdhsa_system_sgpr_workgroup_id_z 0
		.amdhsa_system_sgpr_workgroup_info 0
		.amdhsa_system_vgpr_workitem_id 0
		.amdhsa_next_free_vgpr 1
		.amdhsa_next_free_sgpr 1
		.amdhsa_reserve_vcc 0
		.amdhsa_float_round_mode_32 0
		.amdhsa_float_round_mode_16_64 0
		.amdhsa_float_denorm_mode_32 3
		.amdhsa_float_denorm_mode_16_64 3
		.amdhsa_dx10_clamp 1
		.amdhsa_ieee_mode 1
		.amdhsa_fp16_overflow 0
		.amdhsa_workgroup_processor_mode 1
		.amdhsa_memory_ordered 1
		.amdhsa_forward_progress 0
		.amdhsa_shared_vgpr_count 0
		.amdhsa_exception_fp_ieee_invalid_op 0
		.amdhsa_exception_fp_denorm_src 0
		.amdhsa_exception_fp_ieee_div_zero 0
		.amdhsa_exception_fp_ieee_overflow 0
		.amdhsa_exception_fp_ieee_underflow 0
		.amdhsa_exception_fp_ieee_inexact 0
		.amdhsa_exception_int_div_zero 0
	.end_amdhsa_kernel
	.section	.text._ZN2ckL12flush_icacheEv,"axG",@progbits,_ZN2ckL12flush_icacheEv,comdat
.Lfunc_end0:
	.size	_ZN2ckL12flush_icacheEv, .Lfunc_end0-_ZN2ckL12flush_icacheEv
                                        ; -- End function
	.section	.AMDGPU.csdata,"",@progbits
; Kernel info:
; codeLenInByte = 344
; NumSgprs: 0
; NumVgprs: 0
; ScratchSize: 0
; MemoryBound: 0
; FloatMode: 240
; IeeeMode: 1
; LDSByteSize: 0 bytes/workgroup (compile time only)
; SGPRBlocks: 0
; VGPRBlocks: 0
; NumSGPRsForWavesPerEU: 1
; NumVGPRsForWavesPerEU: 1
; Occupancy: 16
; WaveLimiterHint : 0
; COMPUTE_PGM_RSRC2:SCRATCH_EN: 0
; COMPUTE_PGM_RSRC2:USER_SGPR: 15
; COMPUTE_PGM_RSRC2:TRAP_HANDLER: 0
; COMPUTE_PGM_RSRC2:TGID_X_EN: 1
; COMPUTE_PGM_RSRC2:TGID_Y_EN: 0
; COMPUTE_PGM_RSRC2:TGID_Z_EN: 0
; COMPUTE_PGM_RSRC2:TIDIG_COMP_CNT: 0
	.section	.text._ZN2ck27kernel_gemm_xdl_cshuffle_v1INS_43GridwiseGemm_k0mk1_k0nk1_mn_xdl_cshuffle_v1INS_13tensor_layout4gemm8RowMajorES4_S4_DF16_DF16_fDF16_DF16_NS_16tensor_operation12element_wise11PassThroughES7_S7_LNS5_6device18GemmSpecializationE0ELNS_25InMemoryDataOperationEnumE0ELi1ELi256ELi256ELi128ELi32ELi8ELi2ELi16ELi16ELi8ELi4ENS_8SequenceIJLi4ELi64ELi1EEEENSB_IJLi1ELi0ELi2EEEESD_Li2ELi8ELi8ELb0ELi1ENSB_IJLi8ELi32ELi1EEEENSB_IJLi0ELi2ELi1EEEESF_Li1ELi4ELi2ELb0ELi0ELi1ELi2ENSB_IJLi1ELi16ELi1ELi16EEEELi4ELNS_13LoopSchedulerE1ELNS_15PipelineVersionE0EDF16_DF16_EELb1EEEvNT_8ArgumentE,"axG",@progbits,_ZN2ck27kernel_gemm_xdl_cshuffle_v1INS_43GridwiseGemm_k0mk1_k0nk1_mn_xdl_cshuffle_v1INS_13tensor_layout4gemm8RowMajorES4_S4_DF16_DF16_fDF16_DF16_NS_16tensor_operation12element_wise11PassThroughES7_S7_LNS5_6device18GemmSpecializationE0ELNS_25InMemoryDataOperationEnumE0ELi1ELi256ELi256ELi128ELi32ELi8ELi2ELi16ELi16ELi8ELi4ENS_8SequenceIJLi4ELi64ELi1EEEENSB_IJLi1ELi0ELi2EEEESD_Li2ELi8ELi8ELb0ELi1ENSB_IJLi8ELi32ELi1EEEENSB_IJLi0ELi2ELi1EEEESF_Li1ELi4ELi2ELb0ELi0ELi1ELi2ENSB_IJLi1ELi16ELi1ELi16EEEELi4ELNS_13LoopSchedulerE1ELNS_15PipelineVersionE0EDF16_DF16_EELb1EEEvNT_8ArgumentE,comdat
	.protected	_ZN2ck27kernel_gemm_xdl_cshuffle_v1INS_43GridwiseGemm_k0mk1_k0nk1_mn_xdl_cshuffle_v1INS_13tensor_layout4gemm8RowMajorES4_S4_DF16_DF16_fDF16_DF16_NS_16tensor_operation12element_wise11PassThroughES7_S7_LNS5_6device18GemmSpecializationE0ELNS_25InMemoryDataOperationEnumE0ELi1ELi256ELi256ELi128ELi32ELi8ELi2ELi16ELi16ELi8ELi4ENS_8SequenceIJLi4ELi64ELi1EEEENSB_IJLi1ELi0ELi2EEEESD_Li2ELi8ELi8ELb0ELi1ENSB_IJLi8ELi32ELi1EEEENSB_IJLi0ELi2ELi1EEEESF_Li1ELi4ELi2ELb0ELi0ELi1ELi2ENSB_IJLi1ELi16ELi1ELi16EEEELi4ELNS_13LoopSchedulerE1ELNS_15PipelineVersionE0EDF16_DF16_EELb1EEEvNT_8ArgumentE ; -- Begin function _ZN2ck27kernel_gemm_xdl_cshuffle_v1INS_43GridwiseGemm_k0mk1_k0nk1_mn_xdl_cshuffle_v1INS_13tensor_layout4gemm8RowMajorES4_S4_DF16_DF16_fDF16_DF16_NS_16tensor_operation12element_wise11PassThroughES7_S7_LNS5_6device18GemmSpecializationE0ELNS_25InMemoryDataOperationEnumE0ELi1ELi256ELi256ELi128ELi32ELi8ELi2ELi16ELi16ELi8ELi4ENS_8SequenceIJLi4ELi64ELi1EEEENSB_IJLi1ELi0ELi2EEEESD_Li2ELi8ELi8ELb0ELi1ENSB_IJLi8ELi32ELi1EEEENSB_IJLi0ELi2ELi1EEEESF_Li1ELi4ELi2ELb0ELi0ELi1ELi2ENSB_IJLi1ELi16ELi1ELi16EEEELi4ELNS_13LoopSchedulerE1ELNS_15PipelineVersionE0EDF16_DF16_EELb1EEEvNT_8ArgumentE
	.globl	_ZN2ck27kernel_gemm_xdl_cshuffle_v1INS_43GridwiseGemm_k0mk1_k0nk1_mn_xdl_cshuffle_v1INS_13tensor_layout4gemm8RowMajorES4_S4_DF16_DF16_fDF16_DF16_NS_16tensor_operation12element_wise11PassThroughES7_S7_LNS5_6device18GemmSpecializationE0ELNS_25InMemoryDataOperationEnumE0ELi1ELi256ELi256ELi128ELi32ELi8ELi2ELi16ELi16ELi8ELi4ENS_8SequenceIJLi4ELi64ELi1EEEENSB_IJLi1ELi0ELi2EEEESD_Li2ELi8ELi8ELb0ELi1ENSB_IJLi8ELi32ELi1EEEENSB_IJLi0ELi2ELi1EEEESF_Li1ELi4ELi2ELb0ELi0ELi1ELi2ENSB_IJLi1ELi16ELi1ELi16EEEELi4ELNS_13LoopSchedulerE1ELNS_15PipelineVersionE0EDF16_DF16_EELb1EEEvNT_8ArgumentE
	.p2align	8
	.type	_ZN2ck27kernel_gemm_xdl_cshuffle_v1INS_43GridwiseGemm_k0mk1_k0nk1_mn_xdl_cshuffle_v1INS_13tensor_layout4gemm8RowMajorES4_S4_DF16_DF16_fDF16_DF16_NS_16tensor_operation12element_wise11PassThroughES7_S7_LNS5_6device18GemmSpecializationE0ELNS_25InMemoryDataOperationEnumE0ELi1ELi256ELi256ELi128ELi32ELi8ELi2ELi16ELi16ELi8ELi4ENS_8SequenceIJLi4ELi64ELi1EEEENSB_IJLi1ELi0ELi2EEEESD_Li2ELi8ELi8ELb0ELi1ENSB_IJLi8ELi32ELi1EEEENSB_IJLi0ELi2ELi1EEEESF_Li1ELi4ELi2ELb0ELi0ELi1ELi2ENSB_IJLi1ELi16ELi1ELi16EEEELi4ELNS_13LoopSchedulerE1ELNS_15PipelineVersionE0EDF16_DF16_EELb1EEEvNT_8ArgumentE,@function
_ZN2ck27kernel_gemm_xdl_cshuffle_v1INS_43GridwiseGemm_k0mk1_k0nk1_mn_xdl_cshuffle_v1INS_13tensor_layout4gemm8RowMajorES4_S4_DF16_DF16_fDF16_DF16_NS_16tensor_operation12element_wise11PassThroughES7_S7_LNS5_6device18GemmSpecializationE0ELNS_25InMemoryDataOperationEnumE0ELi1ELi256ELi256ELi128ELi32ELi8ELi2ELi16ELi16ELi8ELi4ENS_8SequenceIJLi4ELi64ELi1EEEENSB_IJLi1ELi0ELi2EEEESD_Li2ELi8ELi8ELb0ELi1ENSB_IJLi8ELi32ELi1EEEENSB_IJLi0ELi2ELi1EEEESF_Li1ELi4ELi2ELb0ELi0ELi1ELi2ENSB_IJLi1ELi16ELi1ELi16EEEELi4ELNS_13LoopSchedulerE1ELNS_15PipelineVersionE0EDF16_DF16_EELb1EEEvNT_8ArgumentE: ; @_ZN2ck27kernel_gemm_xdl_cshuffle_v1INS_43GridwiseGemm_k0mk1_k0nk1_mn_xdl_cshuffle_v1INS_13tensor_layout4gemm8RowMajorES4_S4_DF16_DF16_fDF16_DF16_NS_16tensor_operation12element_wise11PassThroughES7_S7_LNS5_6device18GemmSpecializationE0ELNS_25InMemoryDataOperationEnumE0ELi1ELi256ELi256ELi128ELi32ELi8ELi2ELi16ELi16ELi8ELi4ENS_8SequenceIJLi4ELi64ELi1EEEENSB_IJLi1ELi0ELi2EEEESD_Li2ELi8ELi8ELb0ELi1ENSB_IJLi8ELi32ELi1EEEENSB_IJLi0ELi2ELi1EEEESF_Li1ELi4ELi2ELb0ELi0ELi1ELi2ENSB_IJLi1ELi16ELi1ELi16EEEELi4ELNS_13LoopSchedulerE1ELNS_15PipelineVersionE0EDF16_DF16_EELb1EEEvNT_8ArgumentE
; %bb.0:
	s_endpgm
	.section	.rodata,"a",@progbits
	.p2align	6, 0x0
	.amdhsa_kernel _ZN2ck27kernel_gemm_xdl_cshuffle_v1INS_43GridwiseGemm_k0mk1_k0nk1_mn_xdl_cshuffle_v1INS_13tensor_layout4gemm8RowMajorES4_S4_DF16_DF16_fDF16_DF16_NS_16tensor_operation12element_wise11PassThroughES7_S7_LNS5_6device18GemmSpecializationE0ELNS_25InMemoryDataOperationEnumE0ELi1ELi256ELi256ELi128ELi32ELi8ELi2ELi16ELi16ELi8ELi4ENS_8SequenceIJLi4ELi64ELi1EEEENSB_IJLi1ELi0ELi2EEEESD_Li2ELi8ELi8ELb0ELi1ENSB_IJLi8ELi32ELi1EEEENSB_IJLi0ELi2ELi1EEEESF_Li1ELi4ELi2ELb0ELi0ELi1ELi2ENSB_IJLi1ELi16ELi1ELi16EEEELi4ELNS_13LoopSchedulerE1ELNS_15PipelineVersionE0EDF16_DF16_EELb1EEEvNT_8ArgumentE
		.amdhsa_group_segment_fixed_size 0
		.amdhsa_private_segment_fixed_size 0
		.amdhsa_kernarg_size 96
		.amdhsa_user_sgpr_count 15
		.amdhsa_user_sgpr_dispatch_ptr 0
		.amdhsa_user_sgpr_queue_ptr 0
		.amdhsa_user_sgpr_kernarg_segment_ptr 1
		.amdhsa_user_sgpr_dispatch_id 0
		.amdhsa_user_sgpr_private_segment_size 0
		.amdhsa_wavefront_size32 1
		.amdhsa_uses_dynamic_stack 0
		.amdhsa_enable_private_segment 0
		.amdhsa_system_sgpr_workgroup_id_x 1
		.amdhsa_system_sgpr_workgroup_id_y 0
		.amdhsa_system_sgpr_workgroup_id_z 0
		.amdhsa_system_sgpr_workgroup_info 0
		.amdhsa_system_vgpr_workitem_id 0
		.amdhsa_next_free_vgpr 1
		.amdhsa_next_free_sgpr 1
		.amdhsa_reserve_vcc 0
		.amdhsa_float_round_mode_32 0
		.amdhsa_float_round_mode_16_64 0
		.amdhsa_float_denorm_mode_32 3
		.amdhsa_float_denorm_mode_16_64 3
		.amdhsa_dx10_clamp 1
		.amdhsa_ieee_mode 1
		.amdhsa_fp16_overflow 0
		.amdhsa_workgroup_processor_mode 1
		.amdhsa_memory_ordered 1
		.amdhsa_forward_progress 0
		.amdhsa_shared_vgpr_count 0
		.amdhsa_exception_fp_ieee_invalid_op 0
		.amdhsa_exception_fp_denorm_src 0
		.amdhsa_exception_fp_ieee_div_zero 0
		.amdhsa_exception_fp_ieee_overflow 0
		.amdhsa_exception_fp_ieee_underflow 0
		.amdhsa_exception_fp_ieee_inexact 0
		.amdhsa_exception_int_div_zero 0
	.end_amdhsa_kernel
	.section	.text._ZN2ck27kernel_gemm_xdl_cshuffle_v1INS_43GridwiseGemm_k0mk1_k0nk1_mn_xdl_cshuffle_v1INS_13tensor_layout4gemm8RowMajorES4_S4_DF16_DF16_fDF16_DF16_NS_16tensor_operation12element_wise11PassThroughES7_S7_LNS5_6device18GemmSpecializationE0ELNS_25InMemoryDataOperationEnumE0ELi1ELi256ELi256ELi128ELi32ELi8ELi2ELi16ELi16ELi8ELi4ENS_8SequenceIJLi4ELi64ELi1EEEENSB_IJLi1ELi0ELi2EEEESD_Li2ELi8ELi8ELb0ELi1ENSB_IJLi8ELi32ELi1EEEENSB_IJLi0ELi2ELi1EEEESF_Li1ELi4ELi2ELb0ELi0ELi1ELi2ENSB_IJLi1ELi16ELi1ELi16EEEELi4ELNS_13LoopSchedulerE1ELNS_15PipelineVersionE0EDF16_DF16_EELb1EEEvNT_8ArgumentE,"axG",@progbits,_ZN2ck27kernel_gemm_xdl_cshuffle_v1INS_43GridwiseGemm_k0mk1_k0nk1_mn_xdl_cshuffle_v1INS_13tensor_layout4gemm8RowMajorES4_S4_DF16_DF16_fDF16_DF16_NS_16tensor_operation12element_wise11PassThroughES7_S7_LNS5_6device18GemmSpecializationE0ELNS_25InMemoryDataOperationEnumE0ELi1ELi256ELi256ELi128ELi32ELi8ELi2ELi16ELi16ELi8ELi4ENS_8SequenceIJLi4ELi64ELi1EEEENSB_IJLi1ELi0ELi2EEEESD_Li2ELi8ELi8ELb0ELi1ENSB_IJLi8ELi32ELi1EEEENSB_IJLi0ELi2ELi1EEEESF_Li1ELi4ELi2ELb0ELi0ELi1ELi2ENSB_IJLi1ELi16ELi1ELi16EEEELi4ELNS_13LoopSchedulerE1ELNS_15PipelineVersionE0EDF16_DF16_EELb1EEEvNT_8ArgumentE,comdat
.Lfunc_end1:
	.size	_ZN2ck27kernel_gemm_xdl_cshuffle_v1INS_43GridwiseGemm_k0mk1_k0nk1_mn_xdl_cshuffle_v1INS_13tensor_layout4gemm8RowMajorES4_S4_DF16_DF16_fDF16_DF16_NS_16tensor_operation12element_wise11PassThroughES7_S7_LNS5_6device18GemmSpecializationE0ELNS_25InMemoryDataOperationEnumE0ELi1ELi256ELi256ELi128ELi32ELi8ELi2ELi16ELi16ELi8ELi4ENS_8SequenceIJLi4ELi64ELi1EEEENSB_IJLi1ELi0ELi2EEEESD_Li2ELi8ELi8ELb0ELi1ENSB_IJLi8ELi32ELi1EEEENSB_IJLi0ELi2ELi1EEEESF_Li1ELi4ELi2ELb0ELi0ELi1ELi2ENSB_IJLi1ELi16ELi1ELi16EEEELi4ELNS_13LoopSchedulerE1ELNS_15PipelineVersionE0EDF16_DF16_EELb1EEEvNT_8ArgumentE, .Lfunc_end1-_ZN2ck27kernel_gemm_xdl_cshuffle_v1INS_43GridwiseGemm_k0mk1_k0nk1_mn_xdl_cshuffle_v1INS_13tensor_layout4gemm8RowMajorES4_S4_DF16_DF16_fDF16_DF16_NS_16tensor_operation12element_wise11PassThroughES7_S7_LNS5_6device18GemmSpecializationE0ELNS_25InMemoryDataOperationEnumE0ELi1ELi256ELi256ELi128ELi32ELi8ELi2ELi16ELi16ELi8ELi4ENS_8SequenceIJLi4ELi64ELi1EEEENSB_IJLi1ELi0ELi2EEEESD_Li2ELi8ELi8ELb0ELi1ENSB_IJLi8ELi32ELi1EEEENSB_IJLi0ELi2ELi1EEEESF_Li1ELi4ELi2ELb0ELi0ELi1ELi2ENSB_IJLi1ELi16ELi1ELi16EEEELi4ELNS_13LoopSchedulerE1ELNS_15PipelineVersionE0EDF16_DF16_EELb1EEEvNT_8ArgumentE
                                        ; -- End function
	.section	.AMDGPU.csdata,"",@progbits
; Kernel info:
; codeLenInByte = 4
; NumSgprs: 0
; NumVgprs: 0
; ScratchSize: 0
; MemoryBound: 0
; FloatMode: 240
; IeeeMode: 1
; LDSByteSize: 0 bytes/workgroup (compile time only)
; SGPRBlocks: 0
; VGPRBlocks: 0
; NumSGPRsForWavesPerEU: 1
; NumVGPRsForWavesPerEU: 1
; Occupancy: 16
; WaveLimiterHint : 0
; COMPUTE_PGM_RSRC2:SCRATCH_EN: 0
; COMPUTE_PGM_RSRC2:USER_SGPR: 15
; COMPUTE_PGM_RSRC2:TRAP_HANDLER: 0
; COMPUTE_PGM_RSRC2:TGID_X_EN: 1
; COMPUTE_PGM_RSRC2:TGID_Y_EN: 0
; COMPUTE_PGM_RSRC2:TGID_Z_EN: 0
; COMPUTE_PGM_RSRC2:TIDIG_COMP_CNT: 0
	.section	.text._ZN2ck27kernel_gemm_xdl_cshuffle_v1INS_43GridwiseGemm_k0mk1_k0nk1_mn_xdl_cshuffle_v1INS_13tensor_layout4gemm8RowMajorES4_S4_DF16_DF16_fDF16_DF16_NS_16tensor_operation12element_wise11PassThroughES7_S7_LNS5_6device18GemmSpecializationE0ELNS_25InMemoryDataOperationEnumE0ELi1ELi256ELi256ELi128ELi32ELi8ELi2ELi16ELi16ELi8ELi4ENS_8SequenceIJLi4ELi64ELi1EEEENSB_IJLi1ELi0ELi2EEEESD_Li2ELi8ELi8ELb0ELi1ENSB_IJLi8ELi32ELi1EEEENSB_IJLi0ELi2ELi1EEEESF_Li1ELi4ELi2ELb0ELi0ELi1ELi2ENSB_IJLi1ELi16ELi1ELi16EEEELi4ELNS_13LoopSchedulerE1ELNS_15PipelineVersionE0EDF16_DF16_EELb0EEEvNT_8ArgumentE,"axG",@progbits,_ZN2ck27kernel_gemm_xdl_cshuffle_v1INS_43GridwiseGemm_k0mk1_k0nk1_mn_xdl_cshuffle_v1INS_13tensor_layout4gemm8RowMajorES4_S4_DF16_DF16_fDF16_DF16_NS_16tensor_operation12element_wise11PassThroughES7_S7_LNS5_6device18GemmSpecializationE0ELNS_25InMemoryDataOperationEnumE0ELi1ELi256ELi256ELi128ELi32ELi8ELi2ELi16ELi16ELi8ELi4ENS_8SequenceIJLi4ELi64ELi1EEEENSB_IJLi1ELi0ELi2EEEESD_Li2ELi8ELi8ELb0ELi1ENSB_IJLi8ELi32ELi1EEEENSB_IJLi0ELi2ELi1EEEESF_Li1ELi4ELi2ELb0ELi0ELi1ELi2ENSB_IJLi1ELi16ELi1ELi16EEEELi4ELNS_13LoopSchedulerE1ELNS_15PipelineVersionE0EDF16_DF16_EELb0EEEvNT_8ArgumentE,comdat
	.protected	_ZN2ck27kernel_gemm_xdl_cshuffle_v1INS_43GridwiseGemm_k0mk1_k0nk1_mn_xdl_cshuffle_v1INS_13tensor_layout4gemm8RowMajorES4_S4_DF16_DF16_fDF16_DF16_NS_16tensor_operation12element_wise11PassThroughES7_S7_LNS5_6device18GemmSpecializationE0ELNS_25InMemoryDataOperationEnumE0ELi1ELi256ELi256ELi128ELi32ELi8ELi2ELi16ELi16ELi8ELi4ENS_8SequenceIJLi4ELi64ELi1EEEENSB_IJLi1ELi0ELi2EEEESD_Li2ELi8ELi8ELb0ELi1ENSB_IJLi8ELi32ELi1EEEENSB_IJLi0ELi2ELi1EEEESF_Li1ELi4ELi2ELb0ELi0ELi1ELi2ENSB_IJLi1ELi16ELi1ELi16EEEELi4ELNS_13LoopSchedulerE1ELNS_15PipelineVersionE0EDF16_DF16_EELb0EEEvNT_8ArgumentE ; -- Begin function _ZN2ck27kernel_gemm_xdl_cshuffle_v1INS_43GridwiseGemm_k0mk1_k0nk1_mn_xdl_cshuffle_v1INS_13tensor_layout4gemm8RowMajorES4_S4_DF16_DF16_fDF16_DF16_NS_16tensor_operation12element_wise11PassThroughES7_S7_LNS5_6device18GemmSpecializationE0ELNS_25InMemoryDataOperationEnumE0ELi1ELi256ELi256ELi128ELi32ELi8ELi2ELi16ELi16ELi8ELi4ENS_8SequenceIJLi4ELi64ELi1EEEENSB_IJLi1ELi0ELi2EEEESD_Li2ELi8ELi8ELb0ELi1ENSB_IJLi8ELi32ELi1EEEENSB_IJLi0ELi2ELi1EEEESF_Li1ELi4ELi2ELb0ELi0ELi1ELi2ENSB_IJLi1ELi16ELi1ELi16EEEELi4ELNS_13LoopSchedulerE1ELNS_15PipelineVersionE0EDF16_DF16_EELb0EEEvNT_8ArgumentE
	.globl	_ZN2ck27kernel_gemm_xdl_cshuffle_v1INS_43GridwiseGemm_k0mk1_k0nk1_mn_xdl_cshuffle_v1INS_13tensor_layout4gemm8RowMajorES4_S4_DF16_DF16_fDF16_DF16_NS_16tensor_operation12element_wise11PassThroughES7_S7_LNS5_6device18GemmSpecializationE0ELNS_25InMemoryDataOperationEnumE0ELi1ELi256ELi256ELi128ELi32ELi8ELi2ELi16ELi16ELi8ELi4ENS_8SequenceIJLi4ELi64ELi1EEEENSB_IJLi1ELi0ELi2EEEESD_Li2ELi8ELi8ELb0ELi1ENSB_IJLi8ELi32ELi1EEEENSB_IJLi0ELi2ELi1EEEESF_Li1ELi4ELi2ELb0ELi0ELi1ELi2ENSB_IJLi1ELi16ELi1ELi16EEEELi4ELNS_13LoopSchedulerE1ELNS_15PipelineVersionE0EDF16_DF16_EELb0EEEvNT_8ArgumentE
	.p2align	8
	.type	_ZN2ck27kernel_gemm_xdl_cshuffle_v1INS_43GridwiseGemm_k0mk1_k0nk1_mn_xdl_cshuffle_v1INS_13tensor_layout4gemm8RowMajorES4_S4_DF16_DF16_fDF16_DF16_NS_16tensor_operation12element_wise11PassThroughES7_S7_LNS5_6device18GemmSpecializationE0ELNS_25InMemoryDataOperationEnumE0ELi1ELi256ELi256ELi128ELi32ELi8ELi2ELi16ELi16ELi8ELi4ENS_8SequenceIJLi4ELi64ELi1EEEENSB_IJLi1ELi0ELi2EEEESD_Li2ELi8ELi8ELb0ELi1ENSB_IJLi8ELi32ELi1EEEENSB_IJLi0ELi2ELi1EEEESF_Li1ELi4ELi2ELb0ELi0ELi1ELi2ENSB_IJLi1ELi16ELi1ELi16EEEELi4ELNS_13LoopSchedulerE1ELNS_15PipelineVersionE0EDF16_DF16_EELb0EEEvNT_8ArgumentE,@function
_ZN2ck27kernel_gemm_xdl_cshuffle_v1INS_43GridwiseGemm_k0mk1_k0nk1_mn_xdl_cshuffle_v1INS_13tensor_layout4gemm8RowMajorES4_S4_DF16_DF16_fDF16_DF16_NS_16tensor_operation12element_wise11PassThroughES7_S7_LNS5_6device18GemmSpecializationE0ELNS_25InMemoryDataOperationEnumE0ELi1ELi256ELi256ELi128ELi32ELi8ELi2ELi16ELi16ELi8ELi4ENS_8SequenceIJLi4ELi64ELi1EEEENSB_IJLi1ELi0ELi2EEEESD_Li2ELi8ELi8ELb0ELi1ENSB_IJLi8ELi32ELi1EEEENSB_IJLi0ELi2ELi1EEEESF_Li1ELi4ELi2ELb0ELi0ELi1ELi2ENSB_IJLi1ELi16ELi1ELi16EEEELi4ELNS_13LoopSchedulerE1ELNS_15PipelineVersionE0EDF16_DF16_EELb0EEEvNT_8ArgumentE: ; @_ZN2ck27kernel_gemm_xdl_cshuffle_v1INS_43GridwiseGemm_k0mk1_k0nk1_mn_xdl_cshuffle_v1INS_13tensor_layout4gemm8RowMajorES4_S4_DF16_DF16_fDF16_DF16_NS_16tensor_operation12element_wise11PassThroughES7_S7_LNS5_6device18GemmSpecializationE0ELNS_25InMemoryDataOperationEnumE0ELi1ELi256ELi256ELi128ELi32ELi8ELi2ELi16ELi16ELi8ELi4ENS_8SequenceIJLi4ELi64ELi1EEEENSB_IJLi1ELi0ELi2EEEESD_Li2ELi8ELi8ELb0ELi1ENSB_IJLi8ELi32ELi1EEEENSB_IJLi0ELi2ELi1EEEESF_Li1ELi4ELi2ELb0ELi0ELi1ELi2ENSB_IJLi1ELi16ELi1ELi16EEEELi4ELNS_13LoopSchedulerE1ELNS_15PipelineVersionE0EDF16_DF16_EELb0EEEvNT_8ArgumentE
; %bb.0:
	s_endpgm
	.section	.rodata,"a",@progbits
	.p2align	6, 0x0
	.amdhsa_kernel _ZN2ck27kernel_gemm_xdl_cshuffle_v1INS_43GridwiseGemm_k0mk1_k0nk1_mn_xdl_cshuffle_v1INS_13tensor_layout4gemm8RowMajorES4_S4_DF16_DF16_fDF16_DF16_NS_16tensor_operation12element_wise11PassThroughES7_S7_LNS5_6device18GemmSpecializationE0ELNS_25InMemoryDataOperationEnumE0ELi1ELi256ELi256ELi128ELi32ELi8ELi2ELi16ELi16ELi8ELi4ENS_8SequenceIJLi4ELi64ELi1EEEENSB_IJLi1ELi0ELi2EEEESD_Li2ELi8ELi8ELb0ELi1ENSB_IJLi8ELi32ELi1EEEENSB_IJLi0ELi2ELi1EEEESF_Li1ELi4ELi2ELb0ELi0ELi1ELi2ENSB_IJLi1ELi16ELi1ELi16EEEELi4ELNS_13LoopSchedulerE1ELNS_15PipelineVersionE0EDF16_DF16_EELb0EEEvNT_8ArgumentE
		.amdhsa_group_segment_fixed_size 0
		.amdhsa_private_segment_fixed_size 0
		.amdhsa_kernarg_size 96
		.amdhsa_user_sgpr_count 15
		.amdhsa_user_sgpr_dispatch_ptr 0
		.amdhsa_user_sgpr_queue_ptr 0
		.amdhsa_user_sgpr_kernarg_segment_ptr 1
		.amdhsa_user_sgpr_dispatch_id 0
		.amdhsa_user_sgpr_private_segment_size 0
		.amdhsa_wavefront_size32 1
		.amdhsa_uses_dynamic_stack 0
		.amdhsa_enable_private_segment 0
		.amdhsa_system_sgpr_workgroup_id_x 1
		.amdhsa_system_sgpr_workgroup_id_y 0
		.amdhsa_system_sgpr_workgroup_id_z 0
		.amdhsa_system_sgpr_workgroup_info 0
		.amdhsa_system_vgpr_workitem_id 0
		.amdhsa_next_free_vgpr 1
		.amdhsa_next_free_sgpr 1
		.amdhsa_reserve_vcc 0
		.amdhsa_float_round_mode_32 0
		.amdhsa_float_round_mode_16_64 0
		.amdhsa_float_denorm_mode_32 3
		.amdhsa_float_denorm_mode_16_64 3
		.amdhsa_dx10_clamp 1
		.amdhsa_ieee_mode 1
		.amdhsa_fp16_overflow 0
		.amdhsa_workgroup_processor_mode 1
		.amdhsa_memory_ordered 1
		.amdhsa_forward_progress 0
		.amdhsa_shared_vgpr_count 0
		.amdhsa_exception_fp_ieee_invalid_op 0
		.amdhsa_exception_fp_denorm_src 0
		.amdhsa_exception_fp_ieee_div_zero 0
		.amdhsa_exception_fp_ieee_overflow 0
		.amdhsa_exception_fp_ieee_underflow 0
		.amdhsa_exception_fp_ieee_inexact 0
		.amdhsa_exception_int_div_zero 0
	.end_amdhsa_kernel
	.section	.text._ZN2ck27kernel_gemm_xdl_cshuffle_v1INS_43GridwiseGemm_k0mk1_k0nk1_mn_xdl_cshuffle_v1INS_13tensor_layout4gemm8RowMajorES4_S4_DF16_DF16_fDF16_DF16_NS_16tensor_operation12element_wise11PassThroughES7_S7_LNS5_6device18GemmSpecializationE0ELNS_25InMemoryDataOperationEnumE0ELi1ELi256ELi256ELi128ELi32ELi8ELi2ELi16ELi16ELi8ELi4ENS_8SequenceIJLi4ELi64ELi1EEEENSB_IJLi1ELi0ELi2EEEESD_Li2ELi8ELi8ELb0ELi1ENSB_IJLi8ELi32ELi1EEEENSB_IJLi0ELi2ELi1EEEESF_Li1ELi4ELi2ELb0ELi0ELi1ELi2ENSB_IJLi1ELi16ELi1ELi16EEEELi4ELNS_13LoopSchedulerE1ELNS_15PipelineVersionE0EDF16_DF16_EELb0EEEvNT_8ArgumentE,"axG",@progbits,_ZN2ck27kernel_gemm_xdl_cshuffle_v1INS_43GridwiseGemm_k0mk1_k0nk1_mn_xdl_cshuffle_v1INS_13tensor_layout4gemm8RowMajorES4_S4_DF16_DF16_fDF16_DF16_NS_16tensor_operation12element_wise11PassThroughES7_S7_LNS5_6device18GemmSpecializationE0ELNS_25InMemoryDataOperationEnumE0ELi1ELi256ELi256ELi128ELi32ELi8ELi2ELi16ELi16ELi8ELi4ENS_8SequenceIJLi4ELi64ELi1EEEENSB_IJLi1ELi0ELi2EEEESD_Li2ELi8ELi8ELb0ELi1ENSB_IJLi8ELi32ELi1EEEENSB_IJLi0ELi2ELi1EEEESF_Li1ELi4ELi2ELb0ELi0ELi1ELi2ENSB_IJLi1ELi16ELi1ELi16EEEELi4ELNS_13LoopSchedulerE1ELNS_15PipelineVersionE0EDF16_DF16_EELb0EEEvNT_8ArgumentE,comdat
.Lfunc_end2:
	.size	_ZN2ck27kernel_gemm_xdl_cshuffle_v1INS_43GridwiseGemm_k0mk1_k0nk1_mn_xdl_cshuffle_v1INS_13tensor_layout4gemm8RowMajorES4_S4_DF16_DF16_fDF16_DF16_NS_16tensor_operation12element_wise11PassThroughES7_S7_LNS5_6device18GemmSpecializationE0ELNS_25InMemoryDataOperationEnumE0ELi1ELi256ELi256ELi128ELi32ELi8ELi2ELi16ELi16ELi8ELi4ENS_8SequenceIJLi4ELi64ELi1EEEENSB_IJLi1ELi0ELi2EEEESD_Li2ELi8ELi8ELb0ELi1ENSB_IJLi8ELi32ELi1EEEENSB_IJLi0ELi2ELi1EEEESF_Li1ELi4ELi2ELb0ELi0ELi1ELi2ENSB_IJLi1ELi16ELi1ELi16EEEELi4ELNS_13LoopSchedulerE1ELNS_15PipelineVersionE0EDF16_DF16_EELb0EEEvNT_8ArgumentE, .Lfunc_end2-_ZN2ck27kernel_gemm_xdl_cshuffle_v1INS_43GridwiseGemm_k0mk1_k0nk1_mn_xdl_cshuffle_v1INS_13tensor_layout4gemm8RowMajorES4_S4_DF16_DF16_fDF16_DF16_NS_16tensor_operation12element_wise11PassThroughES7_S7_LNS5_6device18GemmSpecializationE0ELNS_25InMemoryDataOperationEnumE0ELi1ELi256ELi256ELi128ELi32ELi8ELi2ELi16ELi16ELi8ELi4ENS_8SequenceIJLi4ELi64ELi1EEEENSB_IJLi1ELi0ELi2EEEESD_Li2ELi8ELi8ELb0ELi1ENSB_IJLi8ELi32ELi1EEEENSB_IJLi0ELi2ELi1EEEESF_Li1ELi4ELi2ELb0ELi0ELi1ELi2ENSB_IJLi1ELi16ELi1ELi16EEEELi4ELNS_13LoopSchedulerE1ELNS_15PipelineVersionE0EDF16_DF16_EELb0EEEvNT_8ArgumentE
                                        ; -- End function
	.section	.AMDGPU.csdata,"",@progbits
; Kernel info:
; codeLenInByte = 4
; NumSgprs: 0
; NumVgprs: 0
; ScratchSize: 0
; MemoryBound: 0
; FloatMode: 240
; IeeeMode: 1
; LDSByteSize: 0 bytes/workgroup (compile time only)
; SGPRBlocks: 0
; VGPRBlocks: 0
; NumSGPRsForWavesPerEU: 1
; NumVGPRsForWavesPerEU: 1
; Occupancy: 16
; WaveLimiterHint : 0
; COMPUTE_PGM_RSRC2:SCRATCH_EN: 0
; COMPUTE_PGM_RSRC2:USER_SGPR: 15
; COMPUTE_PGM_RSRC2:TRAP_HANDLER: 0
; COMPUTE_PGM_RSRC2:TGID_X_EN: 1
; COMPUTE_PGM_RSRC2:TGID_Y_EN: 0
; COMPUTE_PGM_RSRC2:TGID_Z_EN: 0
; COMPUTE_PGM_RSRC2:TIDIG_COMP_CNT: 0
	.section	.text._ZN2ck27kernel_gemm_xdl_cshuffle_v1INS_43GridwiseGemm_k0mk1_k0nk1_mn_xdl_cshuffle_v1INS_13tensor_layout4gemm8RowMajorES4_S4_DF16_DF16_fDF16_DF16_NS_16tensor_operation12element_wise11PassThroughES7_S7_LNS5_6device18GemmSpecializationE0ELNS_25InMemoryDataOperationEnumE0ELi1ELi256ELi256ELi128ELi32ELi8ELi2ELi16ELi16ELi8ELi2ENS_8SequenceIJLi4ELi64ELi1EEEENSB_IJLi1ELi0ELi2EEEESD_Li2ELi8ELi8ELb0ELi1ENSB_IJLi8ELi32ELi1EEEENSB_IJLi0ELi2ELi1EEEESF_Li1ELi4ELi2ELb0ELi0ELi1ELi2ENSB_IJLi1ELi16ELi1ELi16EEEELi4ELNS_13LoopSchedulerE1ELNS_15PipelineVersionE0EDF16_DF16_EELb1EEEvNT_8ArgumentE,"axG",@progbits,_ZN2ck27kernel_gemm_xdl_cshuffle_v1INS_43GridwiseGemm_k0mk1_k0nk1_mn_xdl_cshuffle_v1INS_13tensor_layout4gemm8RowMajorES4_S4_DF16_DF16_fDF16_DF16_NS_16tensor_operation12element_wise11PassThroughES7_S7_LNS5_6device18GemmSpecializationE0ELNS_25InMemoryDataOperationEnumE0ELi1ELi256ELi256ELi128ELi32ELi8ELi2ELi16ELi16ELi8ELi2ENS_8SequenceIJLi4ELi64ELi1EEEENSB_IJLi1ELi0ELi2EEEESD_Li2ELi8ELi8ELb0ELi1ENSB_IJLi8ELi32ELi1EEEENSB_IJLi0ELi2ELi1EEEESF_Li1ELi4ELi2ELb0ELi0ELi1ELi2ENSB_IJLi1ELi16ELi1ELi16EEEELi4ELNS_13LoopSchedulerE1ELNS_15PipelineVersionE0EDF16_DF16_EELb1EEEvNT_8ArgumentE,comdat
	.protected	_ZN2ck27kernel_gemm_xdl_cshuffle_v1INS_43GridwiseGemm_k0mk1_k0nk1_mn_xdl_cshuffle_v1INS_13tensor_layout4gemm8RowMajorES4_S4_DF16_DF16_fDF16_DF16_NS_16tensor_operation12element_wise11PassThroughES7_S7_LNS5_6device18GemmSpecializationE0ELNS_25InMemoryDataOperationEnumE0ELi1ELi256ELi256ELi128ELi32ELi8ELi2ELi16ELi16ELi8ELi2ENS_8SequenceIJLi4ELi64ELi1EEEENSB_IJLi1ELi0ELi2EEEESD_Li2ELi8ELi8ELb0ELi1ENSB_IJLi8ELi32ELi1EEEENSB_IJLi0ELi2ELi1EEEESF_Li1ELi4ELi2ELb0ELi0ELi1ELi2ENSB_IJLi1ELi16ELi1ELi16EEEELi4ELNS_13LoopSchedulerE1ELNS_15PipelineVersionE0EDF16_DF16_EELb1EEEvNT_8ArgumentE ; -- Begin function _ZN2ck27kernel_gemm_xdl_cshuffle_v1INS_43GridwiseGemm_k0mk1_k0nk1_mn_xdl_cshuffle_v1INS_13tensor_layout4gemm8RowMajorES4_S4_DF16_DF16_fDF16_DF16_NS_16tensor_operation12element_wise11PassThroughES7_S7_LNS5_6device18GemmSpecializationE0ELNS_25InMemoryDataOperationEnumE0ELi1ELi256ELi256ELi128ELi32ELi8ELi2ELi16ELi16ELi8ELi2ENS_8SequenceIJLi4ELi64ELi1EEEENSB_IJLi1ELi0ELi2EEEESD_Li2ELi8ELi8ELb0ELi1ENSB_IJLi8ELi32ELi1EEEENSB_IJLi0ELi2ELi1EEEESF_Li1ELi4ELi2ELb0ELi0ELi1ELi2ENSB_IJLi1ELi16ELi1ELi16EEEELi4ELNS_13LoopSchedulerE1ELNS_15PipelineVersionE0EDF16_DF16_EELb1EEEvNT_8ArgumentE
	.globl	_ZN2ck27kernel_gemm_xdl_cshuffle_v1INS_43GridwiseGemm_k0mk1_k0nk1_mn_xdl_cshuffle_v1INS_13tensor_layout4gemm8RowMajorES4_S4_DF16_DF16_fDF16_DF16_NS_16tensor_operation12element_wise11PassThroughES7_S7_LNS5_6device18GemmSpecializationE0ELNS_25InMemoryDataOperationEnumE0ELi1ELi256ELi256ELi128ELi32ELi8ELi2ELi16ELi16ELi8ELi2ENS_8SequenceIJLi4ELi64ELi1EEEENSB_IJLi1ELi0ELi2EEEESD_Li2ELi8ELi8ELb0ELi1ENSB_IJLi8ELi32ELi1EEEENSB_IJLi0ELi2ELi1EEEESF_Li1ELi4ELi2ELb0ELi0ELi1ELi2ENSB_IJLi1ELi16ELi1ELi16EEEELi4ELNS_13LoopSchedulerE1ELNS_15PipelineVersionE0EDF16_DF16_EELb1EEEvNT_8ArgumentE
	.p2align	8
	.type	_ZN2ck27kernel_gemm_xdl_cshuffle_v1INS_43GridwiseGemm_k0mk1_k0nk1_mn_xdl_cshuffle_v1INS_13tensor_layout4gemm8RowMajorES4_S4_DF16_DF16_fDF16_DF16_NS_16tensor_operation12element_wise11PassThroughES7_S7_LNS5_6device18GemmSpecializationE0ELNS_25InMemoryDataOperationEnumE0ELi1ELi256ELi256ELi128ELi32ELi8ELi2ELi16ELi16ELi8ELi2ENS_8SequenceIJLi4ELi64ELi1EEEENSB_IJLi1ELi0ELi2EEEESD_Li2ELi8ELi8ELb0ELi1ENSB_IJLi8ELi32ELi1EEEENSB_IJLi0ELi2ELi1EEEESF_Li1ELi4ELi2ELb0ELi0ELi1ELi2ENSB_IJLi1ELi16ELi1ELi16EEEELi4ELNS_13LoopSchedulerE1ELNS_15PipelineVersionE0EDF16_DF16_EELb1EEEvNT_8ArgumentE,@function
_ZN2ck27kernel_gemm_xdl_cshuffle_v1INS_43GridwiseGemm_k0mk1_k0nk1_mn_xdl_cshuffle_v1INS_13tensor_layout4gemm8RowMajorES4_S4_DF16_DF16_fDF16_DF16_NS_16tensor_operation12element_wise11PassThroughES7_S7_LNS5_6device18GemmSpecializationE0ELNS_25InMemoryDataOperationEnumE0ELi1ELi256ELi256ELi128ELi32ELi8ELi2ELi16ELi16ELi8ELi2ENS_8SequenceIJLi4ELi64ELi1EEEENSB_IJLi1ELi0ELi2EEEESD_Li2ELi8ELi8ELb0ELi1ENSB_IJLi8ELi32ELi1EEEENSB_IJLi0ELi2ELi1EEEESF_Li1ELi4ELi2ELb0ELi0ELi1ELi2ENSB_IJLi1ELi16ELi1ELi16EEEELi4ELNS_13LoopSchedulerE1ELNS_15PipelineVersionE0EDF16_DF16_EELb1EEEvNT_8ArgumentE: ; @_ZN2ck27kernel_gemm_xdl_cshuffle_v1INS_43GridwiseGemm_k0mk1_k0nk1_mn_xdl_cshuffle_v1INS_13tensor_layout4gemm8RowMajorES4_S4_DF16_DF16_fDF16_DF16_NS_16tensor_operation12element_wise11PassThroughES7_S7_LNS5_6device18GemmSpecializationE0ELNS_25InMemoryDataOperationEnumE0ELi1ELi256ELi256ELi128ELi32ELi8ELi2ELi16ELi16ELi8ELi2ENS_8SequenceIJLi4ELi64ELi1EEEENSB_IJLi1ELi0ELi2EEEESD_Li2ELi8ELi8ELb0ELi1ENSB_IJLi8ELi32ELi1EEEENSB_IJLi0ELi2ELi1EEEESF_Li1ELi4ELi2ELb0ELi0ELi1ELi2ENSB_IJLi1ELi16ELi1ELi16EEEELi4ELNS_13LoopSchedulerE1ELNS_15PipelineVersionE0EDF16_DF16_EELb1EEEvNT_8ArgumentE
; %bb.0:
	s_clause 0x1
	s_load_b128 s[4:7], s[0:1], 0x10
	s_load_b64 s[20:21], s[0:1], 0x20
	s_add_u32 s22, 0, 0
	v_mov_b32_e32 v53, v0
	s_waitcnt lgkmcnt(0)
	s_addc_u32 s23, s4, -1
	s_add_u32 s2, 0, 0
	s_addc_u32 s10, s6, 0x7fffffff
	s_add_i32 s2, s4, 0xff
	s_add_i32 s3, s5, 0x7f
	s_ashr_i32 s4, s2, 31
	s_ashr_i32 s8, s3, 31
	s_lshr_b32 s4, s4, 24
	s_lshr_b32 s8, s8, 25
	s_add_i32 s2, s2, s4
	s_add_i32 s3, s3, s8
	s_ashr_i32 s2, s2, 8
	s_ashr_i32 s3, s3, 7
	s_abs_i32 s11, s15
	s_mul_i32 s4, s3, s2
	s_mul_i32 s10, s10, s20
	s_abs_i32 s4, s4
	s_delay_alu instid0(SALU_CYCLE_1) | instskip(SKIP_1) | instid1(VALU_DEP_1)
	v_cvt_f32_u32_e32 v0, s4
	s_sub_i32 s9, 0, s4
	v_rcp_iflag_f32_e32 v0, v0
	s_waitcnt_depctr 0xfff
	v_mul_f32_e32 v0, 0x4f7ffffe, v0
	v_and_b32_e32 v26, 3, v53
	v_and_b32_e32 v35, 0xfc, v53
	;; [unrolled: 1-line block ×3, first 2 shown]
	v_lshrrev_b32_e32 v43, 5, v53
	v_cvt_u32_f32_e32 v0, v0
	v_bfe_u32 v40, v53, 1, 3
	v_and_b32_e32 v44, 31, v53
	v_lshlrev_b32_e32 v1, 2, v53
	v_lshlrev_b32_e32 v25, 3, v26
	v_readfirstlane_b32 s8, v0
	s_delay_alu instid0(VALU_DEP_3) | instskip(NEXT) | instid1(VALU_DEP_2)
	v_and_b32_e32 v36, 0x7c, v1
	s_mul_i32 s9, s9, s8
	s_delay_alu instid0(SALU_CYCLE_1) | instskip(NEXT) | instid1(SALU_CYCLE_1)
	s_mul_hi_u32 s9, s8, s9
	s_add_i32 s8, s8, s9
	s_ashr_i32 s9, s15, 31
	s_mul_hi_u32 s8, s11, s8
	s_delay_alu instid0(SALU_CYCLE_1) | instskip(NEXT) | instid1(SALU_CYCLE_1)
	s_mul_i32 s8, s8, s4
	s_sub_i32 s8, s11, s8
	s_delay_alu instid0(SALU_CYCLE_1) | instskip(SKIP_2) | instid1(SALU_CYCLE_1)
	s_sub_i32 s11, s8, s4
	s_cmp_ge_u32 s8, s4
	s_cselect_b32 s8, s11, s8
	s_sub_i32 s11, s8, s4
	s_cmp_ge_u32 s8, s4
	s_cselect_b32 s4, s11, s8
	s_abs_i32 s8, s3
	s_xor_b32 s4, s4, s9
	v_cvt_f32_u32_e32 v0, s8
	s_sub_i32 s12, 0, s8
	s_sub_i32 s4, s4, s9
	s_delay_alu instid0(VALU_DEP_1) | instskip(SKIP_2) | instid1(VALU_DEP_1)
	v_rcp_iflag_f32_e32 v0, v0
	s_waitcnt_depctr 0xfff
	v_mul_f32_e32 v0, 0x4f7ffffe, v0
	v_cvt_u32_f32_e32 v0, v0
	s_delay_alu instid0(VALU_DEP_1) | instskip(NEXT) | instid1(VALU_DEP_1)
	v_readfirstlane_b32 s11, v0
	s_mul_i32 s12, s12, s11
	s_delay_alu instid0(SALU_CYCLE_1) | instskip(SKIP_2) | instid1(SALU_CYCLE_1)
	s_mul_hi_u32 s9, s11, s12
	s_abs_i32 s12, s4
	s_add_i32 s11, s11, s9
	s_mul_hi_u32 s9, s12, s11
	s_xor_b32 s11, s4, s3
	s_mul_i32 s13, s9, s8
	s_ashr_i32 s11, s11, 31
	s_sub_i32 s12, s12, s13
	s_add_i32 s13, s9, 1
	s_sub_i32 s14, s12, s8
	s_cmp_ge_u32 s12, s8
	s_cselect_b32 s9, s13, s9
	s_cselect_b32 s12, s14, s12
	s_add_i32 s13, s9, 1
	s_cmp_ge_u32 s12, s8
	s_cselect_b32 s8, s13, s9
	s_lshr_b32 s9, s2, 29
	s_xor_b32 s8, s8, s11
	s_add_i32 s9, s2, s9
	s_sub_i32 s8, s8, s11
	s_and_b32 s9, s9, -8
	s_mul_i32 s12, s8, s3
	s_sub_i32 s2, s2, s9
	s_cmp_ge_i32 s8, s9
	s_cselect_b32 s2, s2, 8
	s_ashr_i32 s11, s8, 31
	s_abs_i32 s9, s2
	s_lshr_b32 s11, s11, 29
	v_cvt_f32_u32_e32 v0, s9
	s_add_i32 s11, s8, s11
	s_sub_i32 s4, s4, s12
	s_and_b32 s11, s11, -8
	s_delay_alu instid0(VALU_DEP_1) | instskip(SKIP_3) | instid1(SALU_CYCLE_1)
	v_rcp_iflag_f32_e32 v0, v0
	s_sub_i32 s12, s8, s11
	s_sub_i32 s11, 0, s9
	s_mul_i32 s3, s12, s3
	s_add_i32 s3, s3, s4
	s_delay_alu instid0(SALU_CYCLE_1) | instskip(SKIP_2) | instid1(VALU_DEP_1)
	s_abs_i32 s14, s3
	s_waitcnt_depctr 0xfff
	v_mul_f32_e32 v0, 0x4f7ffffe, v0
	v_cvt_u32_f32_e32 v0, v0
	s_delay_alu instid0(VALU_DEP_1) | instskip(SKIP_1) | instid1(VALU_DEP_2)
	v_readfirstlane_b32 s13, v0
	v_lshrrev_b32_e32 v0, 4, v53
	s_mul_i32 s11, s11, s13
	s_delay_alu instid0(VALU_DEP_1) | instskip(SKIP_3) | instid1(SALU_CYCLE_1)
	v_and_b32_e32 v0, 14, v0
	s_mul_hi_u32 s4, s13, s11
	s_mov_b32 s11, 0x31004000
	s_add_i32 s13, s13, s4
	s_mul_hi_u32 s4, s14, s13
	s_xor_b32 s13, s3, s2
	s_mul_i32 s15, s4, s9
	s_ashr_i32 s13, s13, 31
	s_sub_i32 s14, s14, s15
	s_add_i32 s16, s4, 1
	s_sub_i32 s17, s14, s9
	s_cmp_ge_u32 s14, s9
	v_mul_lo_u32 v2, v0, s20
	s_cselect_b32 s4, s16, s4
	s_cselect_b32 s14, s17, s14
	s_add_i32 s24, s4, 1
	s_cmp_ge_u32 s14, s9
	s_load_b128 s[16:19], s[0:1], 0x48
	s_cselect_b32 s9, s24, s4
	s_load_b32 s4, s[0:1], 0x34
	s_xor_b32 s9, s9, s13
	v_lshlrev_b32_e32 v1, 1, v2
	s_sub_i32 s14, s9, s13
	s_add_i32 s10, s5, s10
	s_mul_i32 s2, s14, s2
	s_mov_b32 s15, s11
	s_sub_i32 s2, s3, s2
	s_load_b64 s[0:1], s[0:1], 0x58
	s_add_i32 s2, s2, s8
	s_delay_alu instid0(SALU_CYCLE_1) | instskip(NEXT) | instid1(SALU_CYCLE_1)
	s_sub_i32 s2, s2, s12
	s_lshl_b32 s3, s2, 8
	s_delay_alu instid0(SALU_CYCLE_1)
	v_add_nc_u32_e32 v37, s3, v35
	s_lshl_b32 s3, s14, 7
	s_lshl_b32 s14, s10, 1
	v_add3_u32 v1, v1, v36, s3
	s_waitcnt lgkmcnt(0)
	s_mov_b32 s9, s17
	v_mul_lo_u32 v38, v37, s7
	s_lshl_b32 s17, s20, 1
	s_mov_b32 s12, s18
	v_add_nc_u32_e32 v3, s20, v1
	v_lshlrev_b32_e32 v5, 1, v1
	s_mov_b32 s13, s19
	s_mov_b32 s8, s16
	s_mul_i32 s16, s23, s7
	v_add_nc_u32_e32 v2, v38, v25
	v_lshlrev_b32_e32 v6, 1, v3
	v_add_lshl_u32 v3, v3, s17, 1
	v_add_lshl_u32 v1, s17, v1, 1
	s_add_i32 s6, s6, s16
	v_add_nc_u32_e32 v4, s7, v2
	v_lshlrev_b32_e32 v39, 1, v2
	s_clause 0x3
	buffer_load_b64 v[27:28], v5, s[12:15], 0 offen
	buffer_load_b64 v[29:30], v6, s[12:15], 0 offen
	;; [unrolled: 1-line block ×4, first 2 shown]
	s_lshl_b32 s10, s6, 1
	s_ashr_i32 s6, s4, 31
	v_add_nc_u32_e32 v7, s7, v4
	v_lshlrev_b32_e32 v1, 1, v4
	s_lshr_b32 s6, s6, 30
	s_mul_i32 s16, s20, 0x44
	s_add_i32 s6, s4, s6
	v_lshlrev_b32_e32 v2, 1, v7
	v_add_lshl_u32 v3, v7, s7, 1
	s_clause 0x3
	buffer_load_b128 v[9:12], v39, s[8:11], 0 offen
	buffer_load_b128 v[13:16], v1, s[8:11], 0 offen
	;; [unrolled: 1-line block ×4, first 2 shown]
	v_dual_mov_b32 v1, 0 :: v_dual_and_b32 v42, 0x60, v53
	v_lshlrev_b32_e32 v55, 3, v53
	v_and_b32_e32 v41, 0x80, v53
	v_mul_u32_u24_e32 v26, 0x808, v26
	s_delay_alu instid0(VALU_DEP_4)
	v_mov_b32_e32 v52, v1
	v_mov_b32_e32 v45, v1
	v_mov_b32_e32 v46, v1
	v_mov_b32_e32 v47, v1
	v_mov_b32_e32 v48, v1
	v_mov_b32_e32 v49, v1
	v_mov_b32_e32 v50, v1
	v_dual_mov_b32 v51, v1 :: v_dual_lshlrev_b32 v42, 1, v42
	v_mov_b32_e32 v2, v1
	v_mov_b32_e32 v3, v1
	v_mov_b32_e32 v4, v1
	v_mov_b32_e32 v5, v1
	v_mov_b32_e32 v6, v1
	v_mov_b32_e32 v7, v1
	v_mov_b32_e32 v8, v1
	s_clause 0x1f
	scratch_store_b128 off, v[45:48], off
	scratch_store_b128 off, v[49:52], off offset:16
	scratch_store_b128 off, v[45:48], off offset:32
	;; [unrolled: 1-line block ×31, first 2 shown]
	v_lshlrev_b32_e32 v36, 2, v36
	v_lshl_or_b32 v2, v54, 2, v42
	v_lshrrev_b32_e32 v1, 1, v53
	v_lshlrev_b32_e32 v35, 3, v35
	v_and_or_b32 v40, v55, 8, v40
	v_lshlrev_b32_e32 v41, 1, v41
	s_ashr_i32 s6, s6, 2
	scratch_store_b32 off, v1, off offset:624 ; 4-byte Folded Spill
	v_lshl_or_b32 v1, v0, 9, v36
	v_add_nc_u32_e32 v0, 0x4030, v2
	v_add_lshl_u32 v149, v26, v35, 1
	v_mul_lo_u32 v26, s20, v43
	v_lshl_or_b32 v150, v40, 4, v41
	v_add_nc_u32_e32 v40, 2, v37
	scratch_store_b32 off, v0, off offset:628 ; 4-byte Folded Spill
	v_add_nc_u32_e32 v0, 48, v2
	s_clause 0x1
	scratch_store_b32 off, v2, off offset:592
	scratch_store_b32 off, v53, off offset:612
	v_add_nc_u32_e32 v159, 64, v39
	s_mul_i32 s17, s20, 0x46
	scratch_store_b32 off, v0, off offset:600 ; 4-byte Folded Spill
	v_add_nc_u32_e32 v0, 0x4030, v1
	scratch_store_b32 off, v54, off offset:616 ; 4-byte Folded Spill
	s_mul_i32 s18, s20, 0x42
	s_lshl_b32 s4, s20, 6
	s_add_i32 s6, s6, -1
	scratch_store_b32 off, v0, off offset:604 ; 4-byte Folded Spill
	v_add_lshl_u32 v0, v26, v44, 3
	v_add_nc_u32_e32 v26, 3, v37
	s_lshl_b32 s19, s3, 1
	s_max_i32 s6, s6, 1
	s_add_i32 s16, s16, s19
	s_add_i32 s17, s17, s19
	v_mad_u64_u32 v[35:36], null, s7, v26, v[25:26]
	v_mad_u64_u32 v[36:37], null, s7, v40, v[25:26]
	v_add3_u32 v25, v38, s7, v25
	s_add_i32 s7, s18, s19
	s_add_i32 s18, s4, s19
	s_clause 0x1
	scratch_store_b32 off, v55, off offset:620
	scratch_store_b32 off, v0, off offset:608
	v_lshl_add_u32 v8, v35, 1, 64
	v_lshl_add_u32 v2, v36, 1, 64
	v_lshl_add_u32 v3, v25, 1, 64
	s_waitcnt vmcnt(6)
	v_perm_b32 v25, v29, v27, 0x5040100
	v_perm_b32 v26, v29, v27, 0x7060302
	;; [unrolled: 1-line block ×4, first 2 shown]
	s_waitcnt vmcnt(4)
	v_perm_b32 v29, v31, v33, 0x5040100
	v_perm_b32 v30, v31, v33, 0x7060302
	;; [unrolled: 1-line block ×4, first 2 shown]
	s_waitcnt vmcnt(3)
	ds_store_b128 v149, v[9:12]
	s_waitcnt vmcnt(2)
	ds_store_b128 v149, v[13:16] offset:16
	s_waitcnt vmcnt(1)
	ds_store_b128 v149, v[17:20] offset:32
	;; [unrolled: 2-line block ×3, first 2 shown]
	ds_store_b128 v1, v[29:32] offset:16944
	scratch_store_b32 off, v1, off offset:596 ; 4-byte Folded Spill
	ds_store_b128 v1, v[25:28] offset:16432
.LBB3_1:                                ; =>This Inner Loop Header: Depth=1
	s_clause 0x1
	buffer_load_b128 v[77:80], v159, s[8:11], 0 offen
	buffer_load_b128 v[4:7], v3, s[8:11], 0 offen
	s_waitcnt vmcnt(0)
	scratch_store_b128 off, v[4:7], off offset:512 ; 16-byte Folded Spill
	buffer_load_b128 v[4:7], v2, s[8:11], 0 offen
	s_waitcnt vmcnt(0)
	scratch_store_b128 off, v[4:7], off offset:528 ; 16-byte Folded Spill
	buffer_load_b128 v[4:7], v8, s[8:11], 0 offen
	s_waitcnt vmcnt(0)
	scratch_store_b128 off, v[4:7], off offset:544 ; 16-byte Folded Spill
	s_waitcnt lgkmcnt(0)
	s_waitcnt_vscnt null, 0x0
	s_barrier
	ds_load_b128 v[160:163], v150
	ds_load_b128 v[168:171], v150 offset:512
	ds_load_b128 v[164:167], v150 offset:4112
	;; [unrolled: 1-line block ×31, first 2 shown]
	s_waitcnt lgkmcnt(0)
	s_clause 0x1
	scratch_store_b128 off, v[17:20], off offset:560
	scratch_store_b128 off, v[21:24], off offset:576
	scratch_load_b32 v0, off, off offset:592 ; 4-byte Folded Reload
	s_waitcnt vmcnt(0)
	v_add_nc_u32_e32 v0, 0x4030, v0
	ds_load_2addr_stride64_b32 v[25:26], v0 offset0:2 offset1:3
	ds_load_2addr_stride64_b32 v[27:28], v0 offset0:6 offset1:7
	;; [unrolled: 1-line block ×8, first 2 shown]
	scratch_load_b32 v1, off, off offset:608 ; 4-byte Folded Reload
	s_waitcnt vmcnt(0)
	v_add_nc_u32_e32 v41, s18, v1
	v_add_nc_u32_e32 v42, s7, v1
	;; [unrolled: 1-line block ×4, first 2 shown]
	s_clause 0x3
	buffer_load_b64 v[145:146], v41, s[12:15], 0 offen
	buffer_load_b64 v[49:50], v42, s[12:15], 0 offen
	;; [unrolled: 1-line block ×4, first 2 shown]
	scratch_load_b32 v1, off, off offset:600 ; 4-byte Folded Reload
	s_waitcnt vmcnt(0)
	ds_load_2addr_stride64_b32 v[55:56], v1 offset0:64 offset1:65
	ds_load_2addr_stride64_b32 v[57:58], v0 offset0:8 offset1:9
	;; [unrolled: 1-line block ×8, first 2 shown]
	; sched_barrier mask(0x00000000)
	;;#ASMSTART
	s_barrier
	;;#ASMEND
	; sched_barrier mask(0x00000000)
	s_clause 0x1
	scratch_load_b128 v[17:20], off, off offset:480
	scratch_load_b128 v[21:24], off, off offset:496
	s_waitcnt lgkmcnt(7)
	v_dual_mov_b32 v41, v55 :: v_dual_mov_b32 v42, v25
	s_waitcnt lgkmcnt(5)
	v_dual_mov_b32 v43, v59 :: v_dual_mov_b32 v46, v29
	v_dual_mov_b32 v44, v27 :: v_dual_mov_b32 v45, v57
	s_waitcnt lgkmcnt(3)
	v_mov_b32_e32 v47, v63
	v_mov_b32_e32 v48, v31
	s_waitcnt vmcnt(0)
	s_delay_alu instid0(VALU_DEP_1)
	v_wmma_f32_16x16x16_f16 v[17:24], v[160:167], v[41:48], v[17:24]
	; sched_barrier mask(0x00000000)
	s_setprio 1
	; sched_barrier mask(0x00000000)
	v_dual_mov_b32 v25, v56 :: v_dual_mov_b32 v56, v3
	s_clause 0x7
	scratch_load_b128 v[121:124], off, off offset:448
	scratch_load_b128 v[125:128], off, off offset:464
	scratch_load_b128 v[113:116], off, off offset:416
	scratch_load_b128 v[117:120], off, off offset:432
	scratch_load_b128 v[105:108], off, off offset:384
	scratch_load_b128 v[109:112], off, off offset:400
	scratch_load_b128 v[97:100], off, off offset:352
	scratch_load_b128 v[101:104], off, off offset:368
	v_mov_b32_e32 v55, v2
	s_clause 0x9
	scratch_load_b128 v[0:3], off, off offset:288
	scratch_load_b128 v[4:7], off, off offset:304
	;; [unrolled: 1-line block ×10, first 2 shown]
	v_mov_b32_e32 v27, v60
	v_mov_b32_e32 v29, v58
	;; [unrolled: 1-line block ×3, first 2 shown]
	s_waitcnt vmcnt(14)
	v_wmma_f32_16x16x16_f16 v[113:120], v[168:175], v[41:48], v[113:120]
	s_waitcnt vmcnt(12)
	s_delay_alu instid0(VALU_DEP_2)
	v_wmma_f32_16x16x16_f16 v[105:112], v[168:175], v[25:32], v[105:112]
	s_waitcnt vmcnt(10)
	v_wmma_f32_16x16x16_f16 v[97:104], v[192:199], v[41:48], v[97:104]
	s_waitcnt vmcnt(8)
	;; [unrolled: 2-line block ×6, first 2 shown]
	v_wmma_f32_16x16x16_f16 v[69:76], v[224:231], v[25:32], v[69:76]
	s_clause 0x7
	scratch_load_b128 v[224:227], off, off offset:128
	scratch_load_b128 v[228:231], off, off offset:144
	;; [unrolled: 1-line block ×8, first 2 shown]
	s_waitcnt vmcnt(6)
	v_wmma_f32_16x16x16_f16 v[224:231], v[232:239], v[41:48], v[224:231]
	s_waitcnt vmcnt(2)
	v_wmma_f32_16x16x16_f16 v[192:199], v[9:16], v[41:48], v[192:199]
	;; [unrolled: 2-line block ×3, first 2 shown]
	v_mov_b32_e32 v14, v37
	v_mov_b32_e32 v10, v33
	v_mov_b32_e32 v12, v35
	v_wmma_f32_16x16x16_f16 v[121:128], v[160:167], v[25:32], v[121:128]
	s_clause 0x1
	scratch_load_b128 v[160:163], off, off
	scratch_load_b128 v[164:167], off, off offset:16
	v_mov_b32_e32 v33, v62
	s_waitcnt lgkmcnt(1)
	v_mov_b32_e32 v11, v65
	v_mov_b32_e32 v35, v66
	;; [unrolled: 1-line block ×4, first 2 shown]
	s_waitcnt lgkmcnt(0)
	v_mov_b32_e32 v15, v67
	v_dual_mov_b32 v16, v39 :: v_dual_mov_b32 v9, v61
	v_mov_b32_e32 v39, v68
	v_wmma_f32_16x16x16_f16 v[200:207], v[232:239], v[25:32], v[200:207]
	s_delay_alu instid0(VALU_DEP_3) | instskip(NEXT) | instid1(VALU_DEP_3)
	v_wmma_f32_16x16x16_f16 v[17:24], v[176:183], v[9:16], v[17:24]
	v_wmma_f32_16x16x16_f16 v[121:128], v[176:183], v[33:40], v[121:128]
	;; [unrolled: 1-line block ×10, first 2 shown]
	s_waitcnt vmcnt(0)
	v_wmma_f32_16x16x16_f16 v[160:167], v[129:136], v[41:48], v[160:167]
	s_clause 0x1
	scratch_load_b128 v[41:44], off, off offset:320
	scratch_load_b128 v[45:48], off, off offset:336
	s_clause 0xb
	scratch_store_b128 off, v[17:20], off offset:480
	scratch_store_b128 off, v[21:24], off offset:496
	;; [unrolled: 1-line block ×12, first 2 shown]
	v_mov_b32_e32 v2, v55
	v_wmma_f32_16x16x16_f16 v[89:96], v[216:223], v[9:16], v[89:96]
	v_wmma_f32_16x16x16_f16 v[151:158], v[240:247], v[9:16], v[151:158]
	v_wmma_f32_16x16x16_f16 v[224:231], v[248:255], v[9:16], v[224:231]
	v_wmma_f32_16x16x16_f16 v[192:199], v[137:144], v[9:16], v[192:199]
	s_clause 0xf
	scratch_store_b128 off, v[89:92], off offset:256
	scratch_store_b128 off, v[93:96], off offset:272
	;; [unrolled: 1-line block ×16, first 2 shown]
	s_clause 0x1
	scratch_load_b128 v[17:20], off, off offset:560
	scratch_load_b128 v[21:24], off, off offset:576
	v_mov_b32_e32 v3, v56
	s_waitcnt vmcnt(2)
	v_wmma_f32_16x16x16_f16 v[41:48], v[129:136], v[25:32], v[41:48]
	s_waitcnt vmcnt(0)
	v_wmma_f32_16x16x16_f16 v[160:167], v[17:24], v[9:16], v[160:167]
	s_clause 0x1
	scratch_store_b128 off, v[160:163], off
	scratch_store_b128 off, v[164:167], off offset:16
	; sched_barrier mask(0x00000000)
	s_waitcnt lgkmcnt(0)
	s_waitcnt_vscnt null, 0x0
	s_barrier
	; sched_barrier mask(0x00000000)
	v_wmma_f32_16x16x16_f16 v[41:48], v[17:24], v[33:40], v[41:48]
	s_clause 0x1
	scratch_store_b128 off, v[41:44], off offset:320
	scratch_store_b128 off, v[45:48], off offset:336
	; sched_barrier mask(0x00000000)
	s_setprio 0
	; sched_barrier mask(0x00000000)
	s_clause 0x1
	scratch_load_b128 v[4:7], off, off offset:512
	scratch_load_b32 v0, off, off offset:604
	ds_store_b128 v149, v[77:80]
	v_perm_b32 v13, v51, v53, 0x5040100
	v_perm_b32 v14, v51, v53, 0x7060302
	;; [unrolled: 1-line block ×8, first 2 shown]
	v_add_nc_u32_e32 v8, 64, v8
	v_add_nc_u32_e32 v2, 64, v2
	v_add_nc_u32_e32 v3, 64, v3
	v_add_nc_u32_e32 v159, 64, v159
	s_add_i32 s6, s6, -1
	s_add_i32 s16, s16, s4
	s_add_i32 s17, s17, s4
	;; [unrolled: 1-line block ×4, first 2 shown]
	s_cmp_lg_u32 s6, 0
	s_waitcnt vmcnt(1)
	ds_store_b128 v149, v[4:7] offset:16
	scratch_load_b128 v[4:7], off, off offset:528 ; 16-byte Folded Reload
	s_waitcnt vmcnt(0)
	ds_store_b128 v149, v[4:7] offset:32
	scratch_load_b128 v[4:7], off, off offset:544 ; 16-byte Folded Reload
	s_waitcnt vmcnt(0)
	ds_store_b128 v149, v[4:7] offset:48
	ds_store_b128 v0, v[13:16] offset:512
	scratch_load_b32 v0, off, off offset:596 ; 4-byte Folded Reload
	s_waitcnt vmcnt(0)
	ds_store_b128 v0, v[9:12] offset:16432
	s_cbranch_scc1 .LBB3_1
; %bb.2:
	s_waitcnt lgkmcnt(0)
	s_waitcnt_vscnt null, 0x0
	s_barrier
	ds_load_b128 v[9:12], v150
	ds_load_b128 v[17:20], v150 offset:512
	ds_load_b128 v[13:16], v150 offset:4112
	;; [unrolled: 1-line block ×31, first 2 shown]
	scratch_load_b32 v0, off, off offset:592 ; 4-byte Folded Reload
	s_mul_i32 s23, s23, s21
	s_mul_hi_u32 s4, s22, s21
	s_delay_alu instid0(SALU_CYCLE_1)
	s_add_i32 s4, s4, s23
	s_waitcnt vmcnt(0)
	v_add_nc_u32_e32 v49, 48, v0
	scratch_load_b32 v0, off, off offset:628 ; 4-byte Folded Reload
	s_waitcnt vmcnt(0)
	ds_load_2addr_stride64_b32 v[223:224], v0 offset0:2 offset1:3
	ds_load_2addr_stride64_b32 v[227:228], v0 offset0:10 offset1:11
	ds_load_2addr_stride64_b32 v[229:230], v0 offset0:14 offset1:15
	ds_load_2addr_stride64_b32 v[231:232], v0 offset0:18 offset1:19
	ds_load_2addr_stride64_b32 v[233:234], v0 offset0:22 offset1:23
	ds_load_2addr_stride64_b32 v[235:236], v0 offset0:26 offset1:27
	ds_load_2addr_stride64_b32 v[237:238], v0 offset0:30 offset1:31
	ds_load_2addr_stride64_b32 v[225:226], v0 offset0:6 offset1:7
	ds_load_2addr_stride64_b32 v[49:50], v49 offset0:64 offset1:65
	ds_load_2addr_stride64_b32 v[51:52], v0 offset0:8 offset1:9
	ds_load_2addr_stride64_b32 v[53:54], v0 offset0:4 offset1:5
	ds_load_2addr_stride64_b32 v[31:32], v0 offset0:16 offset1:17
	ds_load_2addr_stride64_b32 v[57:58], v0 offset0:12 offset1:13
	ds_load_2addr_stride64_b32 v[145:146], v0 offset0:24 offset1:25
	ds_load_2addr_stride64_b32 v[147:148], v0 offset0:20 offset1:21
	ds_load_2addr_stride64_b32 v[149:150], v0 offset0:28 offset1:29
	; sched_barrier mask(0x00000000)
	;;#ASMSTART
	s_barrier
	;;#ASMEND
	; sched_barrier mask(0x00000000)
	s_clause 0x1
	scratch_load_b128 v[121:124], off, off offset:480
	scratch_load_b128 v[125:128], off, off offset:496
	s_waitcnt lgkmcnt(7)
	v_dual_mov_b32 v239, v49 :: v_dual_mov_b32 v240, v223
	s_waitcnt lgkmcnt(5)
	v_dual_mov_b32 v241, v53 :: v_dual_mov_b32 v244, v227
	v_dual_mov_b32 v242, v225 :: v_dual_mov_b32 v243, v51
	s_waitcnt lgkmcnt(3)
	v_mov_b32_e32 v245, v57
	v_mov_b32_e32 v246, v229
	s_waitcnt vmcnt(0)
	s_delay_alu instid0(VALU_DEP_1)
	v_wmma_f32_16x16x16_f16 v[121:128], v[9:16], v[239:246], v[121:128]
	; sched_barrier mask(0x00000000)
	s_setprio 1
	; sched_barrier mask(0x00000000)
	s_clause 0x5
	scratch_load_b128 v[113:116], off, off offset:448
	scratch_load_b128 v[117:120], off, off offset:464
	;; [unrolled: 1-line block ×6, first 2 shown]
	v_mov_b32_e32 v223, v50
	v_mov_b32_e32 v225, v54
	;; [unrolled: 1-line block ×4, first 2 shown]
	s_clause 0x5
	scratch_load_b128 v[1:4], off, off offset:352
	scratch_load_b128 v[5:8], off, off offset:368
	;; [unrolled: 1-line block ×6, first 2 shown]
	s_waitcnt vmcnt(10)
	v_wmma_f32_16x16x16_f16 v[113:120], v[9:16], v[223:230], v[113:120]
	v_mov_b32_e32 v16, v237
	s_waitcnt vmcnt(8)
	v_wmma_f32_16x16x16_f16 v[105:112], v[17:24], v[239:246], v[105:112]
	v_mov_b32_e32 v10, v231
	v_mov_b32_e32 v12, v233
	;; [unrolled: 1-line block ×3, first 2 shown]
	s_waitcnt vmcnt(6)
	v_wmma_f32_16x16x16_f16 v[97:104], v[17:24], v[223:230], v[97:104]
	s_clause 0x7
	scratch_load_b128 v[23:26], off, off offset:224
	scratch_load_b128 v[27:30], off, off offset:240
	;; [unrolled: 1-line block ×8, first 2 shown]
	s_waitcnt vmcnt(12)
	v_wmma_f32_16x16x16_f16 v[1:8], v[41:48], v[239:246], v[1:8]
	s_waitcnt vmcnt(10)
	v_wmma_f32_16x16x16_f16 v[89:96], v[41:48], v[223:230], v[89:96]
	;; [unrolled: 2-line block ×3, first 2 shown]
	v_mov_b32_e32 v9, v31
	v_mov_b32_e32 v231, v32
	s_waitcnt lgkmcnt(1)
	v_mov_b32_e32 v11, v147
	v_mov_b32_e32 v233, v148
	;; [unrolled: 1-line block ×4, first 2 shown]
	s_waitcnt lgkmcnt(0)
	v_mov_b32_e32 v15, v149
	v_mov_b32_e32 v237, v150
	s_delay_alu instid0(VALU_DEP_2) | instskip(NEXT) | instid1(VALU_DEP_2)
	v_wmma_f32_16x16x16_f16 v[121:128], v[81:88], v[9:16], v[121:128]
	v_wmma_f32_16x16x16_f16 v[113:120], v[81:88], v[231:238], v[113:120]
	;; [unrolled: 1-line block ×7, first 2 shown]
	s_waitcnt vmcnt(6)
	v_wmma_f32_16x16x16_f16 v[23:30], v[129:136], v[223:230], v[23:30]
	s_waitcnt vmcnt(4)
	v_wmma_f32_16x16x16_f16 v[73:80], v[159:166], v[239:246], v[73:80]
	;; [unrolled: 2-line block ×3, first 2 shown]
	s_clause 0x7
	scratch_load_b128 v[159:162], off, off offset:96
	scratch_load_b128 v[163:166], off, off offset:112
	;; [unrolled: 1-line block ×6, first 2 shown]
	scratch_load_b128 v[41:44], off, off
	scratch_load_b128 v[45:48], off, off offset:16
	s_waitcnt vmcnt(8)
	v_wmma_f32_16x16x16_f16 v[247:254], v[167:174], v[239:246], v[247:254]
	v_wmma_f32_16x16x16_f16 v[23:30], v[151:158], v[231:238], v[23:30]
	;; [unrolled: 1-line block ×4, first 2 shown]
	s_delay_alu instid0(VALU_DEP_4)
	v_wmma_f32_16x16x16_f16 v[247:254], v[183:190], v[9:16], v[247:254]
	s_waitcnt vmcnt(6)
	v_wmma_f32_16x16x16_f16 v[159:166], v[167:174], v[223:230], v[159:166]
	s_clause 0x1
	scratch_load_b128 v[167:170], off, off offset:320
	scratch_load_b128 v[171:174], off, off offset:336
	s_waitcnt vmcnt(6)
	v_wmma_f32_16x16x16_f16 v[129:136], v[191:198], v[239:246], v[129:136]
	s_waitcnt vmcnt(4)
	v_wmma_f32_16x16x16_f16 v[65:72], v[191:198], v[223:230], v[65:72]
	;; [unrolled: 2-line block ×3, first 2 shown]
	v_wmma_f32_16x16x16_f16 v[159:166], v[183:190], v[231:238], v[159:166]
	v_wmma_f32_16x16x16_f16 v[129:136], v[207:214], v[9:16], v[129:136]
	;; [unrolled: 1-line block ×3, first 2 shown]
	s_delay_alu instid0(VALU_DEP_4) | instskip(SKIP_4) | instid1(VALU_DEP_1)
	v_wmma_f32_16x16x16_f16 v[41:48], v[215:222], v[9:16], v[41:48]
	s_waitcnt vmcnt(0)
	v_wmma_f32_16x16x16_f16 v[167:174], v[199:206], v[223:230], v[167:174]
	; sched_barrier mask(0x00000000)
	s_waitcnt lgkmcnt(0)
	s_barrier
	; sched_barrier mask(0x00000000)
	v_wmma_f32_16x16x16_f16 v[167:174], v[215:222], v[231:238], v[167:174]
	; sched_barrier mask(0x00000000)
	s_setprio 0
	; sched_barrier mask(0x00000000)
	s_clause 0x2
	scratch_load_b32 v10, off, off offset:612
	scratch_load_b32 v11, off, off offset:620
	;; [unrolled: 1-line block ×3, first 2 shown]
	s_waitcnt vmcnt(0) lgkmcnt(0)
	s_barrier
	scratch_load_b32 v13, off, off offset:616 ; 4-byte Folded Reload
	v_cvt_f16_f32_e32 v12, v121
	v_cvt_f16_f32_e32 v14, v125
	;; [unrolled: 1-line block ×8, first 2 shown]
	v_lshlrev_b32_e32 v0, 4, v10
	v_and_b32_e32 v11, 0x78, v11
	v_lshl_or_b32 v9, v10, 6, v9
	v_lshrrev_b32_e32 v10, 3, v10
	s_delay_alu instid0(VALU_DEP_4) | instskip(NEXT) | instid1(VALU_DEP_4)
	v_and_b32_e32 v0, 0x800, v0
	v_or_b32_e32 v17, s3, v11
	s_delay_alu instid0(VALU_DEP_4) | instskip(NEXT) | instid1(VALU_DEP_4)
	v_and_b32_e32 v9, 0x430, v9
	v_and_b32_e32 v10, 30, v10
	v_lshlrev_b32_e32 v11, 1, v11
	s_mov_b32 s3, 0x31004000
	s_waitcnt vmcnt(0)
	v_or3_b32 v0, v9, v0, v13
	v_cvt_f16_f32_e32 v13, v123
	v_cvt_f16_f32_e32 v9, v122
	v_lshl_or_b32 v113, v10, 8, v11
	v_lshl_or_b32 v20, s2, 8, v10
	v_lshlrev_b32_e32 v0, 1, v0
	s_add_i32 s2, s5, s4
	s_mul_i32 s4, s21, 31
	ds_store_b16 v0, v12
	ds_store_b16 v0, v9 offset:256
	ds_store_b16 v0, v13 offset:512
	v_cvt_f16_f32_e32 v13, v126
	ds_store_b16 v0, v14 offset:1024
	v_cvt_f16_f32_e32 v14, v127
	v_cvt_f16_f32_e32 v12, v124
	;; [unrolled: 1-line block ×3, first 2 shown]
	ds_store_b16 v0, v13 offset:1280
	v_cvt_f16_f32_e64 v13, v128
	ds_store_b16 v0, v14 offset:1536
	ds_store_b16 v0, v19 offset:1920
	v_cvt_f16_f32_e32 v14, v116
	ds_store_b16 v0, v13 offset:1792
	ds_store_b16 v0, v22 offset:1664
	;; [unrolled: 1-line block ×9, first 2 shown]
	s_waitcnt lgkmcnt(0)
	s_barrier
	ds_load_2addr_b64 v[9:12], v113 offset1:1
	ds_load_2addr_b64 v[13:16], v113 offset0:32 offset1:33
	v_mad_u64_u32 v[18:19], null, v20, s21, v[17:18]
	s_lshl_b32 s2, s2, 1
	s_delay_alu instid0(VALU_DEP_1) | instskip(SKIP_2) | instid1(VALU_DEP_3)
	v_add_nc_u32_e32 v17, 4, v18
	v_add_nc_u32_e32 v19, s21, v18
	v_lshlrev_b32_e32 v18, 1, v18
	v_lshlrev_b32_e32 v20, 1, v17
	v_add_lshl_u32 v17, v17, s21, 1
	s_delay_alu instid0(VALU_DEP_4)
	v_lshlrev_b32_e32 v21, 1, v19
	s_waitcnt lgkmcnt(1)
	s_clause 0x1
	buffer_store_b64 v[9:10], v18, s[0:3], 0 offen
	buffer_store_b64 v[11:12], v20, s[0:3], 0 offen
	s_waitcnt lgkmcnt(0)
	s_clause 0x1
	buffer_store_b64 v[15:16], v17, s[0:3], 0 offen
	buffer_store_b64 v[13:14], v21, s[0:3], 0 offen
	v_cvt_f16_f32_e32 v9, v105
	v_cvt_f16_f32_e32 v10, v106
	s_waitcnt lgkmcnt(0)
	s_waitcnt_vscnt null, 0x0
	s_barrier
	v_cvt_f16_f32_e32 v14, v110
	ds_store_b16 v0, v9
	v_cvt_f16_f32_e32 v9, v107
	ds_store_b16 v0, v10 offset:256
	v_cvt_f16_f32_e32 v10, v109
	v_cvt_f16_f32_e32 v16, v104
	ds_store_b16 v0, v14 offset:1280
	ds_store_b16 v0, v9 offset:512
	v_cvt_f16_f32_e32 v14, v112
	ds_store_b16 v0, v10 offset:1024
	v_cvt_f16_f32_e32 v10, v111
	v_cvt_f16_f32_e32 v18, v103
	;; [unrolled: 1-line block ×8, first 2 shown]
	ds_store_b16 v0, v10 offset:1536
	ds_store_b16 v0, v16 offset:1920
	v_cvt_f16_f32_e32 v10, v100
	ds_store_b16 v0, v14 offset:1792
	ds_store_b16 v0, v18 offset:1664
	;; [unrolled: 1-line block ×9, first 2 shown]
	s_waitcnt lgkmcnt(0)
	s_barrier
	ds_load_2addr_b64 v[9:12], v113 offset1:1
	ds_load_2addr_b64 v[13:16], v113 offset0:32 offset1:33
	v_add_nc_u32_e32 v17, s4, v19
	s_delay_alu instid0(VALU_DEP_1) | instskip(SKIP_2) | instid1(VALU_DEP_3)
	v_add_nc_u32_e32 v18, 4, v17
	v_add_nc_u32_e32 v19, s21, v17
	v_lshlrev_b32_e32 v17, 1, v17
	v_lshlrev_b32_e32 v20, 1, v18
	v_add_lshl_u32 v18, v18, s21, 1
	s_delay_alu instid0(VALU_DEP_4)
	v_lshlrev_b32_e32 v21, 1, v19
	s_waitcnt lgkmcnt(1)
	s_clause 0x1
	buffer_store_b64 v[9:10], v17, s[0:3], 0 offen
	buffer_store_b64 v[11:12], v20, s[0:3], 0 offen
	s_waitcnt lgkmcnt(0)
	s_clause 0x1
	buffer_store_b64 v[15:16], v18, s[0:3], 0 offen
	buffer_store_b64 v[13:14], v21, s[0:3], 0 offen
	v_cvt_f16_f32_e32 v9, v1
	v_cvt_f16_f32_e32 v10, v2
	s_waitcnt lgkmcnt(0)
	s_waitcnt_vscnt null, 0x0
	s_barrier
	v_cvt_f16_f32_e32 v14, v6
	ds_store_b16 v0, v9
	v_cvt_f16_f32_e32 v9, v3
	ds_store_b16 v0, v10 offset:256
	v_cvt_f16_f32_e32 v10, v5
	v_cvt_f16_f32_e32 v16, v96
	ds_store_b16 v0, v14 offset:1280
	ds_store_b16 v0, v9 offset:512
	v_cvt_f16_f32_e32 v14, v8
	ds_store_b16 v0, v10 offset:1024
	v_cvt_f16_f32_e32 v10, v7
	v_cvt_f16_f32_e32 v18, v95
	;; [unrolled: 1-line block ×8, first 2 shown]
	ds_store_b16 v0, v10 offset:1536
	ds_store_b16 v0, v16 offset:1920
	v_cvt_f16_f32_e32 v10, v92
	ds_store_b16 v0, v14 offset:1792
	ds_store_b16 v0, v18 offset:1664
	;; [unrolled: 1-line block ×9, first 2 shown]
	s_waitcnt lgkmcnt(0)
	s_barrier
	ds_load_2addr_b64 v[9:12], v113 offset1:1
	ds_load_2addr_b64 v[13:16], v113 offset0:32 offset1:33
	v_add_nc_u32_e32 v17, s4, v19
	v_cvt_f16_f32_e64 v8, v174
	v_cvt_f16_f32_e64 v7, v173
	;; [unrolled: 1-line block ×4, first 2 shown]
	v_add_nc_u32_e32 v18, 4, v17
	v_add_nc_u32_e32 v19, s21, v17
	v_lshlrev_b32_e32 v17, 1, v17
	v_cvt_f16_f32_e64 v1, v167
	v_cvt_f16_f32_e64 v2, v168
	v_lshlrev_b32_e32 v20, 1, v18
	v_add_lshl_u32 v18, v18, s21, 1
	v_lshlrev_b32_e32 v21, 1, v19
	s_waitcnt lgkmcnt(1)
	s_clause 0x1
	buffer_store_b64 v[9:10], v17, s[0:3], 0 offen
	buffer_store_b64 v[11:12], v20, s[0:3], 0 offen
	s_waitcnt lgkmcnt(0)
	s_clause 0x1
	buffer_store_b64 v[15:16], v18, s[0:3], 0 offen
	buffer_store_b64 v[13:14], v21, s[0:3], 0 offen
	v_cvt_f16_f32_e32 v9, v49
	v_cvt_f16_f32_e32 v10, v50
	s_waitcnt lgkmcnt(0)
	s_waitcnt_vscnt null, 0x0
	s_barrier
	v_cvt_f16_f32_e32 v14, v54
	ds_store_b16 v0, v9
	v_cvt_f16_f32_e32 v9, v51
	ds_store_b16 v0, v10 offset:256
	v_cvt_f16_f32_e32 v10, v53
	v_cvt_f16_f32_e32 v16, v30
	ds_store_b16 v0, v14 offset:1280
	ds_store_b16 v0, v9 offset:512
	v_cvt_f16_f32_e32 v14, v56
	ds_store_b16 v0, v10 offset:1024
	v_cvt_f16_f32_e32 v10, v55
	v_cvt_f16_f32_e32 v18, v29
	;; [unrolled: 1-line block ×8, first 2 shown]
	ds_store_b16 v0, v10 offset:1536
	ds_store_b16 v0, v16 offset:1920
	v_cvt_f16_f32_e32 v10, v26
	ds_store_b16 v0, v14 offset:1792
	ds_store_b16 v0, v18 offset:1664
	;; [unrolled: 1-line block ×9, first 2 shown]
	s_waitcnt lgkmcnt(0)
	s_barrier
	ds_load_2addr_b64 v[9:12], v113 offset1:1
	ds_load_2addr_b64 v[13:16], v113 offset0:32 offset1:33
	v_add_nc_u32_e32 v17, s4, v19
	v_cvt_f16_f32_e64 v3, v169
	v_cvt_f16_f32_e64 v4, v170
	s_delay_alu instid0(VALU_DEP_3) | instskip(SKIP_2) | instid1(VALU_DEP_3)
	v_add_nc_u32_e32 v18, 4, v17
	v_add_nc_u32_e32 v19, s21, v17
	v_lshlrev_b32_e32 v17, 1, v17
	v_lshlrev_b32_e32 v20, 1, v18
	v_add_lshl_u32 v18, v18, s21, 1
	s_delay_alu instid0(VALU_DEP_4)
	v_lshlrev_b32_e32 v21, 1, v19
	s_waitcnt lgkmcnt(1)
	s_clause 0x1
	buffer_store_b64 v[9:10], v17, s[0:3], 0 offen
	buffer_store_b64 v[11:12], v20, s[0:3], 0 offen
	s_waitcnt lgkmcnt(0)
	s_clause 0x1
	buffer_store_b64 v[15:16], v18, s[0:3], 0 offen
	buffer_store_b64 v[13:14], v21, s[0:3], 0 offen
	v_cvt_f16_f32_e32 v9, v73
	v_cvt_f16_f32_e32 v10, v74
	s_waitcnt lgkmcnt(0)
	s_waitcnt_vscnt null, 0x0
	s_barrier
	v_cvt_f16_f32_e32 v14, v78
	ds_store_b16 v0, v9
	v_cvt_f16_f32_e32 v9, v75
	ds_store_b16 v0, v10 offset:256
	v_cvt_f16_f32_e32 v10, v77
	v_cvt_f16_f32_e32 v16, v64
	ds_store_b16 v0, v14 offset:1280
	ds_store_b16 v0, v9 offset:512
	v_cvt_f16_f32_e32 v14, v80
	ds_store_b16 v0, v10 offset:1024
	v_cvt_f16_f32_e32 v10, v79
	v_cvt_f16_f32_e32 v18, v63
	;; [unrolled: 1-line block ×8, first 2 shown]
	ds_store_b16 v0, v10 offset:1536
	ds_store_b16 v0, v16 offset:1920
	v_cvt_f16_f32_e32 v10, v60
	ds_store_b16 v0, v14 offset:1792
	ds_store_b16 v0, v18 offset:1664
	;; [unrolled: 1-line block ×9, first 2 shown]
	s_waitcnt lgkmcnt(0)
	s_barrier
	ds_load_2addr_b64 v[9:12], v113 offset1:1
	ds_load_2addr_b64 v[13:16], v113 offset0:32 offset1:33
	v_add_nc_u32_e32 v17, s4, v19
	s_delay_alu instid0(VALU_DEP_1) | instskip(SKIP_2) | instid1(VALU_DEP_3)
	v_add_nc_u32_e32 v18, 4, v17
	v_add_nc_u32_e32 v19, s21, v17
	v_lshlrev_b32_e32 v17, 1, v17
	v_lshlrev_b32_e32 v20, 1, v18
	v_add_lshl_u32 v18, v18, s21, 1
	s_delay_alu instid0(VALU_DEP_4)
	v_lshlrev_b32_e32 v21, 1, v19
	s_waitcnt lgkmcnt(1)
	s_clause 0x1
	buffer_store_b64 v[9:10], v17, s[0:3], 0 offen
	buffer_store_b64 v[11:12], v20, s[0:3], 0 offen
	s_waitcnt lgkmcnt(0)
	s_clause 0x1
	buffer_store_b64 v[15:16], v18, s[0:3], 0 offen
	buffer_store_b64 v[13:14], v21, s[0:3], 0 offen
	v_cvt_f16_f32_e64 v9, v247
	v_cvt_f16_f32_e64 v10, v248
	s_waitcnt lgkmcnt(0)
	s_waitcnt_vscnt null, 0x0
	s_barrier
	v_cvt_f16_f32_e64 v14, v252
	ds_store_b16 v0, v9
	v_cvt_f16_f32_e64 v9, v249
	ds_store_b16 v0, v10 offset:256
	v_cvt_f16_f32_e64 v10, v251
	v_cvt_f16_f32_e64 v16, v166
	ds_store_b16 v0, v14 offset:1280
	ds_store_b16 v0, v9 offset:512
	v_cvt_f16_f32_e64 v14, v254
	ds_store_b16 v0, v10 offset:1024
	v_cvt_f16_f32_e64 v10, v253
	v_cvt_f16_f32_e64 v18, v165
	;; [unrolled: 1-line block ×8, first 2 shown]
	ds_store_b16 v0, v10 offset:1536
	ds_store_b16 v0, v16 offset:1920
	v_cvt_f16_f32_e64 v10, v162
	ds_store_b16 v0, v14 offset:1792
	ds_store_b16 v0, v18 offset:1664
	;; [unrolled: 1-line block ×9, first 2 shown]
	s_waitcnt lgkmcnt(0)
	s_barrier
	ds_load_2addr_b64 v[9:12], v113 offset1:1
	ds_load_2addr_b64 v[13:16], v113 offset0:32 offset1:33
	v_add_nc_u32_e32 v17, s4, v19
	s_delay_alu instid0(VALU_DEP_1) | instskip(SKIP_2) | instid1(VALU_DEP_3)
	v_add_nc_u32_e32 v18, 4, v17
	v_add_nc_u32_e32 v19, s21, v17
	v_lshlrev_b32_e32 v17, 1, v17
	v_lshlrev_b32_e32 v20, 1, v18
	v_add_lshl_u32 v18, v18, s21, 1
	s_delay_alu instid0(VALU_DEP_4)
	v_lshlrev_b32_e32 v21, 1, v19
	s_waitcnt lgkmcnt(1)
	s_clause 0x1
	buffer_store_b64 v[9:10], v17, s[0:3], 0 offen
	buffer_store_b64 v[11:12], v20, s[0:3], 0 offen
	s_waitcnt lgkmcnt(0)
	s_clause 0x1
	buffer_store_b64 v[15:16], v18, s[0:3], 0 offen
	buffer_store_b64 v[13:14], v21, s[0:3], 0 offen
	v_cvt_f16_f32_e64 v9, v129
	v_cvt_f16_f32_e64 v10, v130
	s_waitcnt lgkmcnt(0)
	s_waitcnt_vscnt null, 0x0
	s_barrier
	v_cvt_f16_f32_e64 v14, v134
	ds_store_b16 v0, v9
	v_cvt_f16_f32_e64 v9, v131
	ds_store_b16 v0, v10 offset:256
	v_cvt_f16_f32_e64 v10, v133
	v_cvt_f16_f32_e32 v16, v72
	ds_store_b16 v0, v14 offset:1280
	ds_store_b16 v0, v9 offset:512
	v_cvt_f16_f32_e64 v14, v136
	ds_store_b16 v0, v10 offset:1024
	v_cvt_f16_f32_e64 v10, v135
	v_cvt_f16_f32_e32 v18, v71
	v_cvt_f16_f32_e32 v17, v70
	;; [unrolled: 1-line block ×6, first 2 shown]
	v_cvt_f16_f32_e64 v9, v132
	ds_store_b16 v0, v10 offset:1536
	ds_store_b16 v0, v16 offset:1920
	v_cvt_f16_f32_e32 v10, v68
	ds_store_b16 v0, v14 offset:1792
	ds_store_b16 v0, v18 offset:1664
	;; [unrolled: 1-line block ×9, first 2 shown]
	s_waitcnt lgkmcnt(0)
	s_barrier
	ds_load_2addr_b64 v[9:12], v113 offset1:1
	ds_load_2addr_b64 v[13:16], v113 offset0:32 offset1:33
	v_add_nc_u32_e32 v17, s4, v19
	s_delay_alu instid0(VALU_DEP_1) | instskip(SKIP_2) | instid1(VALU_DEP_3)
	v_add_nc_u32_e32 v18, 4, v17
	v_add_nc_u32_e32 v19, s21, v17
	v_lshlrev_b32_e32 v17, 1, v17
	v_lshlrev_b32_e32 v20, 1, v18
	v_add_lshl_u32 v18, v18, s21, 1
	s_delay_alu instid0(VALU_DEP_4)
	v_lshlrev_b32_e32 v21, 1, v19
	s_waitcnt lgkmcnt(1)
	s_clause 0x1
	buffer_store_b64 v[9:10], v17, s[0:3], 0 offen
	buffer_store_b64 v[11:12], v20, s[0:3], 0 offen
	s_waitcnt lgkmcnt(0)
	s_clause 0x1
	buffer_store_b64 v[15:16], v18, s[0:3], 0 offen
	buffer_store_b64 v[13:14], v21, s[0:3], 0 offen
	v_cvt_f16_f32_e32 v9, v41
	v_cvt_f16_f32_e32 v10, v42
	s_waitcnt lgkmcnt(0)
	s_waitcnt_vscnt null, 0x0
	s_barrier
	v_cvt_f16_f32_e32 v11, v46
	ds_store_b16 v0, v9
	v_cvt_f16_f32_e32 v9, v43
	ds_store_b16 v0, v10 offset:256
	v_cvt_f16_f32_e32 v10, v45
	ds_store_b16 v0, v11 offset:1280
	;; [unrolled: 2-line block ×5, first 2 shown]
	ds_store_b16 v0, v8 offset:1920
	ds_store_b16 v0, v11 offset:1792
	;; [unrolled: 1-line block ×10, first 2 shown]
	s_waitcnt lgkmcnt(0)
	s_barrier
	ds_load_2addr_b64 v[0:3], v113 offset1:1
	ds_load_2addr_b64 v[4:7], v113 offset0:32 offset1:33
	v_add_nc_u32_e32 v8, s4, v19
	s_delay_alu instid0(VALU_DEP_1) | instskip(SKIP_2) | instid1(VALU_DEP_3)
	v_add_nc_u32_e32 v9, 4, v8
	v_lshlrev_b32_e32 v10, 1, v8
	v_add_lshl_u32 v8, v8, s21, 1
	v_lshlrev_b32_e32 v11, 1, v9
	v_add_lshl_u32 v9, v9, s21, 1
	s_waitcnt lgkmcnt(1)
	s_clause 0x1
	buffer_store_b64 v[0:1], v10, s[0:3], 0 offen
	buffer_store_b64 v[2:3], v11, s[0:3], 0 offen
	s_waitcnt lgkmcnt(0)
	s_clause 0x1
	buffer_store_b64 v[6:7], v9, s[0:3], 0 offen
	buffer_store_b64 v[4:5], v8, s[0:3], 0 offen
	s_nop 0
	s_sendmsg sendmsg(MSG_DEALLOC_VGPRS)
	s_endpgm
	.section	.rodata,"a",@progbits
	.p2align	6, 0x0
	.amdhsa_kernel _ZN2ck27kernel_gemm_xdl_cshuffle_v1INS_43GridwiseGemm_k0mk1_k0nk1_mn_xdl_cshuffle_v1INS_13tensor_layout4gemm8RowMajorES4_S4_DF16_DF16_fDF16_DF16_NS_16tensor_operation12element_wise11PassThroughES7_S7_LNS5_6device18GemmSpecializationE0ELNS_25InMemoryDataOperationEnumE0ELi1ELi256ELi256ELi128ELi32ELi8ELi2ELi16ELi16ELi8ELi2ENS_8SequenceIJLi4ELi64ELi1EEEENSB_IJLi1ELi0ELi2EEEESD_Li2ELi8ELi8ELb0ELi1ENSB_IJLi8ELi32ELi1EEEENSB_IJLi0ELi2ELi1EEEESF_Li1ELi4ELi2ELb0ELi0ELi1ELi2ENSB_IJLi1ELi16ELi1ELi16EEEELi4ELNS_13LoopSchedulerE1ELNS_15PipelineVersionE0EDF16_DF16_EELb1EEEvNT_8ArgumentE
		.amdhsa_group_segment_fixed_size 24624
		.amdhsa_private_segment_fixed_size 636
		.amdhsa_kernarg_size 96
		.amdhsa_user_sgpr_count 15
		.amdhsa_user_sgpr_dispatch_ptr 0
		.amdhsa_user_sgpr_queue_ptr 0
		.amdhsa_user_sgpr_kernarg_segment_ptr 1
		.amdhsa_user_sgpr_dispatch_id 0
		.amdhsa_user_sgpr_private_segment_size 0
		.amdhsa_wavefront_size32 1
		.amdhsa_uses_dynamic_stack 0
		.amdhsa_enable_private_segment 1
		.amdhsa_system_sgpr_workgroup_id_x 1
		.amdhsa_system_sgpr_workgroup_id_y 0
		.amdhsa_system_sgpr_workgroup_id_z 0
		.amdhsa_system_sgpr_workgroup_info 0
		.amdhsa_system_vgpr_workitem_id 0
		.amdhsa_next_free_vgpr 256
		.amdhsa_next_free_sgpr 25
		.amdhsa_reserve_vcc 0
		.amdhsa_float_round_mode_32 0
		.amdhsa_float_round_mode_16_64 0
		.amdhsa_float_denorm_mode_32 3
		.amdhsa_float_denorm_mode_16_64 3
		.amdhsa_dx10_clamp 1
		.amdhsa_ieee_mode 1
		.amdhsa_fp16_overflow 0
		.amdhsa_workgroup_processor_mode 1
		.amdhsa_memory_ordered 1
		.amdhsa_forward_progress 0
		.amdhsa_shared_vgpr_count 0
		.amdhsa_exception_fp_ieee_invalid_op 0
		.amdhsa_exception_fp_denorm_src 0
		.amdhsa_exception_fp_ieee_div_zero 0
		.amdhsa_exception_fp_ieee_overflow 0
		.amdhsa_exception_fp_ieee_underflow 0
		.amdhsa_exception_fp_ieee_inexact 0
		.amdhsa_exception_int_div_zero 0
	.end_amdhsa_kernel
	.section	.text._ZN2ck27kernel_gemm_xdl_cshuffle_v1INS_43GridwiseGemm_k0mk1_k0nk1_mn_xdl_cshuffle_v1INS_13tensor_layout4gemm8RowMajorES4_S4_DF16_DF16_fDF16_DF16_NS_16tensor_operation12element_wise11PassThroughES7_S7_LNS5_6device18GemmSpecializationE0ELNS_25InMemoryDataOperationEnumE0ELi1ELi256ELi256ELi128ELi32ELi8ELi2ELi16ELi16ELi8ELi2ENS_8SequenceIJLi4ELi64ELi1EEEENSB_IJLi1ELi0ELi2EEEESD_Li2ELi8ELi8ELb0ELi1ENSB_IJLi8ELi32ELi1EEEENSB_IJLi0ELi2ELi1EEEESF_Li1ELi4ELi2ELb0ELi0ELi1ELi2ENSB_IJLi1ELi16ELi1ELi16EEEELi4ELNS_13LoopSchedulerE1ELNS_15PipelineVersionE0EDF16_DF16_EELb1EEEvNT_8ArgumentE,"axG",@progbits,_ZN2ck27kernel_gemm_xdl_cshuffle_v1INS_43GridwiseGemm_k0mk1_k0nk1_mn_xdl_cshuffle_v1INS_13tensor_layout4gemm8RowMajorES4_S4_DF16_DF16_fDF16_DF16_NS_16tensor_operation12element_wise11PassThroughES7_S7_LNS5_6device18GemmSpecializationE0ELNS_25InMemoryDataOperationEnumE0ELi1ELi256ELi256ELi128ELi32ELi8ELi2ELi16ELi16ELi8ELi2ENS_8SequenceIJLi4ELi64ELi1EEEENSB_IJLi1ELi0ELi2EEEESD_Li2ELi8ELi8ELb0ELi1ENSB_IJLi8ELi32ELi1EEEENSB_IJLi0ELi2ELi1EEEESF_Li1ELi4ELi2ELb0ELi0ELi1ELi2ENSB_IJLi1ELi16ELi1ELi16EEEELi4ELNS_13LoopSchedulerE1ELNS_15PipelineVersionE0EDF16_DF16_EELb1EEEvNT_8ArgumentE,comdat
.Lfunc_end3:
	.size	_ZN2ck27kernel_gemm_xdl_cshuffle_v1INS_43GridwiseGemm_k0mk1_k0nk1_mn_xdl_cshuffle_v1INS_13tensor_layout4gemm8RowMajorES4_S4_DF16_DF16_fDF16_DF16_NS_16tensor_operation12element_wise11PassThroughES7_S7_LNS5_6device18GemmSpecializationE0ELNS_25InMemoryDataOperationEnumE0ELi1ELi256ELi256ELi128ELi32ELi8ELi2ELi16ELi16ELi8ELi2ENS_8SequenceIJLi4ELi64ELi1EEEENSB_IJLi1ELi0ELi2EEEESD_Li2ELi8ELi8ELb0ELi1ENSB_IJLi8ELi32ELi1EEEENSB_IJLi0ELi2ELi1EEEESF_Li1ELi4ELi2ELb0ELi0ELi1ELi2ENSB_IJLi1ELi16ELi1ELi16EEEELi4ELNS_13LoopSchedulerE1ELNS_15PipelineVersionE0EDF16_DF16_EELb1EEEvNT_8ArgumentE, .Lfunc_end3-_ZN2ck27kernel_gemm_xdl_cshuffle_v1INS_43GridwiseGemm_k0mk1_k0nk1_mn_xdl_cshuffle_v1INS_13tensor_layout4gemm8RowMajorES4_S4_DF16_DF16_fDF16_DF16_NS_16tensor_operation12element_wise11PassThroughES7_S7_LNS5_6device18GemmSpecializationE0ELNS_25InMemoryDataOperationEnumE0ELi1ELi256ELi256ELi128ELi32ELi8ELi2ELi16ELi16ELi8ELi2ENS_8SequenceIJLi4ELi64ELi1EEEENSB_IJLi1ELi0ELi2EEEESD_Li2ELi8ELi8ELb0ELi1ENSB_IJLi8ELi32ELi1EEEENSB_IJLi0ELi2ELi1EEEESF_Li1ELi4ELi2ELb0ELi0ELi1ELi2ENSB_IJLi1ELi16ELi1ELi16EEEELi4ELNS_13LoopSchedulerE1ELNS_15PipelineVersionE0EDF16_DF16_EELb1EEEvNT_8ArgumentE
                                        ; -- End function
	.section	.AMDGPU.csdata,"",@progbits
; Kernel info:
; codeLenInByte = 7632
; NumSgprs: 25
; NumVgprs: 256
; ScratchSize: 636
; MemoryBound: 0
; FloatMode: 240
; IeeeMode: 1
; LDSByteSize: 24624 bytes/workgroup (compile time only)
; SGPRBlocks: 3
; VGPRBlocks: 31
; NumSGPRsForWavesPerEU: 25
; NumVGPRsForWavesPerEU: 256
; Occupancy: 5
; WaveLimiterHint : 0
; COMPUTE_PGM_RSRC2:SCRATCH_EN: 1
; COMPUTE_PGM_RSRC2:USER_SGPR: 15
; COMPUTE_PGM_RSRC2:TRAP_HANDLER: 0
; COMPUTE_PGM_RSRC2:TGID_X_EN: 1
; COMPUTE_PGM_RSRC2:TGID_Y_EN: 0
; COMPUTE_PGM_RSRC2:TGID_Z_EN: 0
; COMPUTE_PGM_RSRC2:TIDIG_COMP_CNT: 0
	.section	.text._ZN2ck27kernel_gemm_xdl_cshuffle_v1INS_43GridwiseGemm_k0mk1_k0nk1_mn_xdl_cshuffle_v1INS_13tensor_layout4gemm8RowMajorES4_S4_DF16_DF16_fDF16_DF16_NS_16tensor_operation12element_wise11PassThroughES7_S7_LNS5_6device18GemmSpecializationE0ELNS_25InMemoryDataOperationEnumE0ELi1ELi256ELi256ELi128ELi32ELi8ELi2ELi16ELi16ELi8ELi2ENS_8SequenceIJLi4ELi64ELi1EEEENSB_IJLi1ELi0ELi2EEEESD_Li2ELi8ELi8ELb0ELi1ENSB_IJLi8ELi32ELi1EEEENSB_IJLi0ELi2ELi1EEEESF_Li1ELi4ELi2ELb0ELi0ELi1ELi2ENSB_IJLi1ELi16ELi1ELi16EEEELi4ELNS_13LoopSchedulerE1ELNS_15PipelineVersionE0EDF16_DF16_EELb0EEEvNT_8ArgumentE,"axG",@progbits,_ZN2ck27kernel_gemm_xdl_cshuffle_v1INS_43GridwiseGemm_k0mk1_k0nk1_mn_xdl_cshuffle_v1INS_13tensor_layout4gemm8RowMajorES4_S4_DF16_DF16_fDF16_DF16_NS_16tensor_operation12element_wise11PassThroughES7_S7_LNS5_6device18GemmSpecializationE0ELNS_25InMemoryDataOperationEnumE0ELi1ELi256ELi256ELi128ELi32ELi8ELi2ELi16ELi16ELi8ELi2ENS_8SequenceIJLi4ELi64ELi1EEEENSB_IJLi1ELi0ELi2EEEESD_Li2ELi8ELi8ELb0ELi1ENSB_IJLi8ELi32ELi1EEEENSB_IJLi0ELi2ELi1EEEESF_Li1ELi4ELi2ELb0ELi0ELi1ELi2ENSB_IJLi1ELi16ELi1ELi16EEEELi4ELNS_13LoopSchedulerE1ELNS_15PipelineVersionE0EDF16_DF16_EELb0EEEvNT_8ArgumentE,comdat
	.protected	_ZN2ck27kernel_gemm_xdl_cshuffle_v1INS_43GridwiseGemm_k0mk1_k0nk1_mn_xdl_cshuffle_v1INS_13tensor_layout4gemm8RowMajorES4_S4_DF16_DF16_fDF16_DF16_NS_16tensor_operation12element_wise11PassThroughES7_S7_LNS5_6device18GemmSpecializationE0ELNS_25InMemoryDataOperationEnumE0ELi1ELi256ELi256ELi128ELi32ELi8ELi2ELi16ELi16ELi8ELi2ENS_8SequenceIJLi4ELi64ELi1EEEENSB_IJLi1ELi0ELi2EEEESD_Li2ELi8ELi8ELb0ELi1ENSB_IJLi8ELi32ELi1EEEENSB_IJLi0ELi2ELi1EEEESF_Li1ELi4ELi2ELb0ELi0ELi1ELi2ENSB_IJLi1ELi16ELi1ELi16EEEELi4ELNS_13LoopSchedulerE1ELNS_15PipelineVersionE0EDF16_DF16_EELb0EEEvNT_8ArgumentE ; -- Begin function _ZN2ck27kernel_gemm_xdl_cshuffle_v1INS_43GridwiseGemm_k0mk1_k0nk1_mn_xdl_cshuffle_v1INS_13tensor_layout4gemm8RowMajorES4_S4_DF16_DF16_fDF16_DF16_NS_16tensor_operation12element_wise11PassThroughES7_S7_LNS5_6device18GemmSpecializationE0ELNS_25InMemoryDataOperationEnumE0ELi1ELi256ELi256ELi128ELi32ELi8ELi2ELi16ELi16ELi8ELi2ENS_8SequenceIJLi4ELi64ELi1EEEENSB_IJLi1ELi0ELi2EEEESD_Li2ELi8ELi8ELb0ELi1ENSB_IJLi8ELi32ELi1EEEENSB_IJLi0ELi2ELi1EEEESF_Li1ELi4ELi2ELb0ELi0ELi1ELi2ENSB_IJLi1ELi16ELi1ELi16EEEELi4ELNS_13LoopSchedulerE1ELNS_15PipelineVersionE0EDF16_DF16_EELb0EEEvNT_8ArgumentE
	.globl	_ZN2ck27kernel_gemm_xdl_cshuffle_v1INS_43GridwiseGemm_k0mk1_k0nk1_mn_xdl_cshuffle_v1INS_13tensor_layout4gemm8RowMajorES4_S4_DF16_DF16_fDF16_DF16_NS_16tensor_operation12element_wise11PassThroughES7_S7_LNS5_6device18GemmSpecializationE0ELNS_25InMemoryDataOperationEnumE0ELi1ELi256ELi256ELi128ELi32ELi8ELi2ELi16ELi16ELi8ELi2ENS_8SequenceIJLi4ELi64ELi1EEEENSB_IJLi1ELi0ELi2EEEESD_Li2ELi8ELi8ELb0ELi1ENSB_IJLi8ELi32ELi1EEEENSB_IJLi0ELi2ELi1EEEESF_Li1ELi4ELi2ELb0ELi0ELi1ELi2ENSB_IJLi1ELi16ELi1ELi16EEEELi4ELNS_13LoopSchedulerE1ELNS_15PipelineVersionE0EDF16_DF16_EELb0EEEvNT_8ArgumentE
	.p2align	8
	.type	_ZN2ck27kernel_gemm_xdl_cshuffle_v1INS_43GridwiseGemm_k0mk1_k0nk1_mn_xdl_cshuffle_v1INS_13tensor_layout4gemm8RowMajorES4_S4_DF16_DF16_fDF16_DF16_NS_16tensor_operation12element_wise11PassThroughES7_S7_LNS5_6device18GemmSpecializationE0ELNS_25InMemoryDataOperationEnumE0ELi1ELi256ELi256ELi128ELi32ELi8ELi2ELi16ELi16ELi8ELi2ENS_8SequenceIJLi4ELi64ELi1EEEENSB_IJLi1ELi0ELi2EEEESD_Li2ELi8ELi8ELb0ELi1ENSB_IJLi8ELi32ELi1EEEENSB_IJLi0ELi2ELi1EEEESF_Li1ELi4ELi2ELb0ELi0ELi1ELi2ENSB_IJLi1ELi16ELi1ELi16EEEELi4ELNS_13LoopSchedulerE1ELNS_15PipelineVersionE0EDF16_DF16_EELb0EEEvNT_8ArgumentE,@function
_ZN2ck27kernel_gemm_xdl_cshuffle_v1INS_43GridwiseGemm_k0mk1_k0nk1_mn_xdl_cshuffle_v1INS_13tensor_layout4gemm8RowMajorES4_S4_DF16_DF16_fDF16_DF16_NS_16tensor_operation12element_wise11PassThroughES7_S7_LNS5_6device18GemmSpecializationE0ELNS_25InMemoryDataOperationEnumE0ELi1ELi256ELi256ELi128ELi32ELi8ELi2ELi16ELi16ELi8ELi2ENS_8SequenceIJLi4ELi64ELi1EEEENSB_IJLi1ELi0ELi2EEEESD_Li2ELi8ELi8ELb0ELi1ENSB_IJLi8ELi32ELi1EEEENSB_IJLi0ELi2ELi1EEEESF_Li1ELi4ELi2ELb0ELi0ELi1ELi2ENSB_IJLi1ELi16ELi1ELi16EEEELi4ELNS_13LoopSchedulerE1ELNS_15PipelineVersionE0EDF16_DF16_EELb0EEEvNT_8ArgumentE: ; @_ZN2ck27kernel_gemm_xdl_cshuffle_v1INS_43GridwiseGemm_k0mk1_k0nk1_mn_xdl_cshuffle_v1INS_13tensor_layout4gemm8RowMajorES4_S4_DF16_DF16_fDF16_DF16_NS_16tensor_operation12element_wise11PassThroughES7_S7_LNS5_6device18GemmSpecializationE0ELNS_25InMemoryDataOperationEnumE0ELi1ELi256ELi256ELi128ELi32ELi8ELi2ELi16ELi16ELi8ELi2ENS_8SequenceIJLi4ELi64ELi1EEEENSB_IJLi1ELi0ELi2EEEESD_Li2ELi8ELi8ELb0ELi1ENSB_IJLi8ELi32ELi1EEEENSB_IJLi0ELi2ELi1EEEESF_Li1ELi4ELi2ELb0ELi0ELi1ELi2ENSB_IJLi1ELi16ELi1ELi16EEEELi4ELNS_13LoopSchedulerE1ELNS_15PipelineVersionE0EDF16_DF16_EELb0EEEvNT_8ArgumentE
; %bb.0:
	s_clause 0x1
	s_load_b128 s[4:7], s[0:1], 0x10
	s_load_b64 s[16:17], s[0:1], 0x20
	s_add_u32 s2, 0, 0
	v_and_b32_e32 v17, 0xfc, v0
	v_and_b32_e32 v27, 3, v0
	v_lshlrev_b32_e32 v98, 3, v0
	v_and_b32_e32 v29, 0x60, v0
	v_bfe_u32 v30, v0, 1, 3
	v_and_b32_e32 v31, 0x80, v0
	v_and_b32_e32 v97, 15, v0
	v_lshrrev_b32_e32 v251, 1, v0
	v_lshlrev_b32_e32 v29, 1, v29
	v_and_or_b32 v30, v98, 8, v30
	v_lshlrev_b32_e32 v31, 1, v31
	s_mov_b32 s20, 0
	v_lshlrev_b32_e32 v2, 2, v0
	v_lshl_or_b32 v29, v97, 2, v29
	s_delay_alu instid0(VALU_DEP_3)
	v_lshl_or_b32 v49, v30, 4, v31
	s_waitcnt lgkmcnt(0)
	s_addc_u32 s18, s4, -1
	s_add_u32 s2, 0, 0
	s_addc_u32 s3, s6, 0x7fffffff
	s_add_i32 s2, s4, 0xff
	s_add_i32 s4, s5, 0x7f
	s_ashr_i32 s8, s2, 31
	s_ashr_i32 s9, s4, 31
	s_lshr_b32 s8, s8, 24
	s_lshr_b32 s9, s9, 25
	s_add_i32 s2, s2, s8
	s_add_i32 s4, s4, s9
	s_ashr_i32 s2, s2, 8
	s_ashr_i32 s4, s4, 7
	s_abs_i32 s11, s15
	s_mul_i32 s8, s4, s2
	v_add_nc_u32_e32 v57, 48, v29
	s_abs_i32 s8, s8
	v_and_b32_e32 v28, 0x7c, v2
	v_cvt_f32_u32_e32 v1, s8
	s_sub_i32 s10, 0, s8
	s_delay_alu instid0(VALU_DEP_1) | instskip(SKIP_2) | instid1(VALU_DEP_1)
	v_rcp_iflag_f32_e32 v1, v1
	s_waitcnt_depctr 0xfff
	v_mul_f32_e32 v1, 0x4f7ffffe, v1
	v_cvt_u32_f32_e32 v1, v1
	s_delay_alu instid0(VALU_DEP_1) | instskip(NEXT) | instid1(VALU_DEP_1)
	v_readfirstlane_b32 s9, v1
	s_mul_i32 s10, s10, s9
	s_delay_alu instid0(SALU_CYCLE_1) | instskip(NEXT) | instid1(SALU_CYCLE_1)
	s_mul_hi_u32 s10, s9, s10
	s_add_i32 s9, s9, s10
	s_ashr_i32 s10, s15, 31
	s_mul_hi_u32 s9, s11, s9
	s_delay_alu instid0(SALU_CYCLE_1) | instskip(NEXT) | instid1(SALU_CYCLE_1)
	s_mul_i32 s9, s9, s8
	s_sub_i32 s9, s11, s9
	s_delay_alu instid0(SALU_CYCLE_1) | instskip(SKIP_2) | instid1(SALU_CYCLE_1)
	s_sub_i32 s11, s9, s8
	s_cmp_ge_u32 s9, s8
	s_cselect_b32 s9, s11, s9
	s_sub_i32 s11, s9, s8
	s_cmp_ge_u32 s9, s8
	s_cselect_b32 s8, s11, s9
	s_abs_i32 s9, s4
	s_xor_b32 s8, s8, s10
	v_cvt_f32_u32_e32 v1, s9
	s_sub_i32 s12, 0, s9
	s_sub_i32 s8, s8, s10
	s_delay_alu instid0(VALU_DEP_1) | instskip(SKIP_2) | instid1(VALU_DEP_1)
	v_rcp_iflag_f32_e32 v1, v1
	s_waitcnt_depctr 0xfff
	v_mul_f32_e32 v1, 0x4f7ffffe, v1
	v_cvt_u32_f32_e32 v1, v1
	s_delay_alu instid0(VALU_DEP_1) | instskip(NEXT) | instid1(VALU_DEP_1)
	v_readfirstlane_b32 s11, v1
	s_mul_i32 s12, s12, s11
	s_delay_alu instid0(SALU_CYCLE_1) | instskip(SKIP_2) | instid1(SALU_CYCLE_1)
	s_mul_hi_u32 s10, s11, s12
	s_abs_i32 s12, s8
	s_add_i32 s11, s11, s10
	s_mul_hi_u32 s10, s12, s11
	s_xor_b32 s11, s8, s4
	s_mul_i32 s13, s10, s9
	s_ashr_i32 s11, s11, 31
	s_sub_i32 s12, s12, s13
	s_add_i32 s13, s10, 1
	s_sub_i32 s14, s12, s9
	s_cmp_ge_u32 s12, s9
	s_cselect_b32 s10, s13, s10
	s_cselect_b32 s12, s14, s12
	s_add_i32 s13, s10, 1
	s_cmp_ge_u32 s12, s9
	s_cselect_b32 s9, s13, s10
	s_lshr_b32 s10, s2, 29
	s_xor_b32 s9, s9, s11
	s_add_i32 s10, s2, s10
	s_sub_i32 s9, s9, s11
	s_and_b32 s10, s10, -8
	s_mul_i32 s12, s9, s4
	s_sub_i32 s2, s2, s10
	s_cmp_ge_i32 s9, s10
	s_cselect_b32 s2, s2, 8
	s_ashr_i32 s11, s9, 31
	s_abs_i32 s10, s2
	s_lshr_b32 s11, s11, 29
	v_cvt_f32_u32_e32 v1, s10
	s_add_i32 s11, s9, s11
	s_sub_i32 s8, s8, s12
	s_and_b32 s11, s11, -8
	s_sub_i32 s12, 0, s10
	v_rcp_iflag_f32_e32 v1, v1
	s_sub_i32 s11, s9, s11
	s_delay_alu instid0(SALU_CYCLE_1) | instskip(NEXT) | instid1(SALU_CYCLE_1)
	s_mul_i32 s4, s11, s4
	s_add_i32 s4, s4, s8
	s_waitcnt_depctr 0xfff
	v_mul_f32_e32 v1, 0x4f7ffffe, v1
	s_delay_alu instid0(VALU_DEP_1) | instskip(NEXT) | instid1(VALU_DEP_1)
	v_cvt_u32_f32_e32 v1, v1
	v_readfirstlane_b32 s13, v1
	v_lshrrev_b32_e32 v1, 4, v0
	s_delay_alu instid0(VALU_DEP_2) | instskip(NEXT) | instid1(VALU_DEP_1)
	s_mul_i32 s12, s12, s13
	v_and_b32_e32 v18, 14, v1
	s_mul_hi_u32 s8, s13, s12
	s_abs_i32 s12, s4
	s_add_i32 s13, s13, s8
	s_delay_alu instid0(SALU_CYCLE_1)
	s_mul_hi_u32 s8, s12, s13
	s_xor_b32 s13, s4, s2
	s_mul_i32 s14, s8, s10
	s_ashr_i32 s13, s13, 31
	s_sub_i32 s12, s12, s14
	s_add_i32 s14, s8, 1
	s_sub_i32 s15, s12, s10
	s_cmp_ge_u32 s12, s10
	v_mul_lo_u32 v3, v18, s16
	s_cselect_b32 s8, s14, s8
	s_cselect_b32 s12, s15, s12
	s_add_i32 s14, s8, 1
	s_cmp_ge_u32 s12, s10
	s_cselect_b32 s8, s14, s8
	s_delay_alu instid0(SALU_CYCLE_1) | instskip(NEXT) | instid1(VALU_DEP_1)
	s_xor_b32 s8, s8, s13
	v_lshlrev_b32_e32 v2, 1, v3
	s_sub_i32 s10, s8, s13
	s_load_b128 s[12:15], s[0:1], 0x48
	s_mul_i32 s2, s10, s2
	s_load_b64 s[0:1], s[0:1], 0x58
	s_sub_i32 s2, s4, s2
	s_mul_i32 s4, s18, s7
	s_add_i32 s2, s2, s9
	s_add_i32 s4, s6, s4
	s_sub_i32 s2, s2, s11
	s_mov_b32 s11, 0x31004000
	s_lshl_b32 s2, s2, 8
	s_delay_alu instid0(SALU_CYCLE_1) | instskip(SKIP_1) | instid1(VALU_DEP_2)
	v_add_nc_u32_e32 v1, s2, v17
	v_lshlrev_b32_e32 v17, 4, v17
	v_mul_lo_u32 v1, v1, s7
	s_waitcnt lgkmcnt(0)
	s_mov_b32 s8, s12
	s_mul_i32 s12, s3, s16
	s_lshl_b32 s3, s10, 7
	s_add_i32 s6, s5, s12
	s_delay_alu instid0(VALU_DEP_1)
	v_lshl_add_u32 v1, v27, 3, v1
	v_add3_u32 v2, v2, v28, s3
	s_lshl_b32 s12, s16, 1
	s_mov_b32 s9, s13
	s_lshl_b32 s10, s4, 1
	v_add_nc_u32_e32 v3, s7, v1
	v_add_nc_u32_e32 v20, s16, v2
	v_lshlrev_b32_e32 v1, 1, v1
	v_lshlrev_b32_e32 v19, 1, v2
	v_add_lshl_u32 v25, s12, v2, 1
	v_add_nc_u32_e32 v4, s7, v3
	v_lshlrev_b32_e32 v5, 1, v3
	v_lshlrev_b32_e32 v21, 1, v20
	v_add_lshl_u32 v23, v20, s12, 1
	v_lshlrev_b32_e32 v28, 2, v28
	v_lshlrev_b32_e32 v9, 1, v4
	v_add_lshl_u32 v13, v4, s7, 1
	s_clause 0x3
	buffer_load_b128 v[1:4], v1, s[8:11], 0 offen
	buffer_load_b128 v[5:8], v5, s[8:11], 0 offen
	;; [unrolled: 1-line block ×4, first 2 shown]
	s_lshl_b32 s10, s6, 1
	s_mov_b32 s8, s14
	s_mov_b32 s9, s15
	s_clause 0x3
	buffer_load_b64 v[19:20], v19, s[8:11], 0 offen
	buffer_load_b64 v[21:22], v21, s[8:11], 0 offen
	;; [unrolled: 1-line block ×4, first 2 shown]
	v_mad_u32_u24 v27, 0x1010, v27, v17
	v_lshl_or_b32 v28, v18, 9, v28
	s_mul_i32 s4, s18, s17
	s_waitcnt vmcnt(2)
	v_perm_b32 v17, v21, v19, 0x5040100
	v_perm_b32 v18, v21, v19, 0x7060302
	;; [unrolled: 1-line block ×4, first 2 shown]
	s_waitcnt vmcnt(0)
	v_perm_b32 v21, v23, v25, 0x5040100
	v_perm_b32 v22, v23, v25, 0x7060302
	;; [unrolled: 1-line block ×4, first 2 shown]
	ds_store_b128 v27, v[1:4]
	ds_store_b128 v27, v[5:8] offset:16
	ds_store_b128 v27, v[9:12] offset:32
	;; [unrolled: 1-line block ×5, first 2 shown]
	s_waitcnt lgkmcnt(0)
	s_barrier
	ds_load_b128 v[9:12], v49
	ds_load_b128 v[17:20], v49 offset:512
	ds_load_b128 v[13:16], v49 offset:4112
	;; [unrolled: 1-line block ×31, first 2 shown]
	ds_load_2addr_stride64_b32 v[49:50], v57 offset0:64 offset1:65
	ds_load_2addr_stride64_b32 v[187:188], v57 offset0:66 offset1:67
	;; [unrolled: 1-line block ×16, first 2 shown]
	; sched_barrier mask(0x00000000)
	;;#ASMSTART
	s_barrier
	;;#ASMEND
	; sched_barrier mask(0x00000000)
	s_mov_b32 s21, s20
	s_mov_b32 s22, s20
	;; [unrolled: 1-line block ×7, first 2 shown]
	v_dual_mov_b32 v1, s20 :: v_dual_mov_b32 v2, s21
	s_waitcnt lgkmcnt(14)
	v_dual_mov_b32 v203, v49 :: v_dual_mov_b32 v204, v187
	s_waitcnt lgkmcnt(12)
	;; [unrolled: 2-line block ×4, first 2 shown]
	v_dual_mov_b32 v209, v55 :: v_dual_mov_b32 v210, v193
	v_dual_mov_b32 v3, s22 :: v_dual_mov_b32 v4, s23
	;; [unrolled: 1-line block ×4, first 2 shown]
	s_delay_alu instid0(VALU_DEP_1)
	v_wmma_f32_16x16x16_f16 v[211:218], v[9:16], v[203:210], v[1:8]
	; sched_barrier mask(0x00000000)
	s_setprio 1
	; sched_barrier mask(0x00000000)
	v_mov_b32_e32 v187, v50
	v_mov_b32_e32 v189, v52
	;; [unrolled: 1-line block ×4, first 2 shown]
	v_wmma_f32_16x16x16_f16 v[227:234], v[17:24], v[203:210], v[1:8]
	v_wmma_f32_16x16x16_f16 v[89:96], v[25:32], v[203:210], v[1:8]
	;; [unrolled: 1-line block ×3, first 2 shown]
	s_delay_alu instid0(VALU_DEP_4)
	v_wmma_f32_16x16x16_f16 v[65:72], v[33:40], v[187:194], v[1:8]
	v_wmma_f32_16x16x16_f16 v[57:64], v[41:48], v[203:210], v[1:8]
	;; [unrolled: 1-line block ×5, first 2 shown]
	s_waitcnt lgkmcnt(0)
	v_dual_mov_b32 v138, v201 :: v_dual_mov_b32 v131, v243
	v_dual_mov_b32 v132, v195 :: v_dual_mov_b32 v195, v244
	v_mov_b32_e32 v133, v245
	v_dual_mov_b32 v134, v197 :: v_dual_mov_b32 v197, v246
	v_mov_b32_e32 v135, v247
	v_mov_b32_e32 v136, v199
	v_wmma_f32_16x16x16_f16 v[219:226], v[9:16], v[187:194], v[1:8]
	v_wmma_f32_16x16x16_f16 v[235:242], v[17:24], v[187:194], v[1:8]
	;; [unrolled: 1-line block ×5, first 2 shown]
	v_mov_b32_e32 v199, v248
	v_mov_b32_e32 v137, v249
	;; [unrolled: 1-line block ×3, first 2 shown]
	v_wmma_f32_16x16x16_f16 v[9:16], v[163:170], v[203:210], v[1:8]
	v_wmma_f32_16x16x16_f16 v[1:8], v[163:170], v[187:194], v[1:8]
	s_delay_alu instid0(VALU_DEP_4) | instskip(NEXT) | instid1(VALU_DEP_4)
	v_wmma_f32_16x16x16_f16 v[211:218], v[99:106], v[131:138], v[211:218]
	v_wmma_f32_16x16x16_f16 v[219:226], v[99:106], v[195:202], v[219:226]
	;; [unrolled: 1-line block ×15, first 2 shown]
	; sched_barrier mask(0x00000000)
	s_waitcnt lgkmcnt(0)
	s_barrier
	; sched_barrier mask(0x00000000)
	v_wmma_f32_16x16x16_f16 v[1:8], v[179:186], v[195:202], v[1:8]
	; sched_barrier mask(0x00000000)
	s_setprio 0
	; sched_barrier mask(0x00000000)
	v_lshlrev_b32_e32 v99, 4, v0
	v_lshl_or_b32 v100, v0, 6, v251
	v_lshrrev_b32_e32 v0, 3, v0
	v_and_b32_e32 v98, 0x78, v98
	v_cvt_f16_f32_e64 v101, v211
	v_and_b32_e32 v99, 0x800, v99
	v_and_b32_e32 v100, 0x430, v100
	v_cvt_f16_f32_e64 v102, v212
	v_cvt_f16_f32_e64 v103, v213
	v_and_b32_e32 v105, 30, v0
	v_or_b32_e32 v106, s3, v98
	v_or3_b32 v97, v100, v99, v97
	v_cvt_f16_f32_e64 v99, v215
	v_cvt_f16_f32_e64 v100, v216
	s_waitcnt lgkmcnt(0)
	s_barrier
	v_lshlrev_b32_e32 v0, 1, v97
	v_cvt_f16_f32_e64 v97, v217
	v_lshlrev_b32_e32 v98, 1, v98
	v_cvt_f16_f32_e64 v107, v218
	v_cvt_f16_f32_e64 v104, v214
	ds_store_b16 v0, v101
	ds_store_b16 v0, v102 offset:256
	ds_store_b16 v0, v103 offset:512
	ds_store_b16 v0, v99 offset:1024
	ds_store_b16 v0, v100 offset:1280
	ds_store_b16 v0, v97 offset:1536
	v_cvt_f16_f32_e64 v103, v223
	v_cvt_f16_f32_e64 v99, v226
	;; [unrolled: 1-line block ×7, first 2 shown]
	ds_store_b16 v0, v99 offset:1920
	ds_store_b16 v0, v107 offset:1792
	;; [unrolled: 1-line block ×8, first 2 shown]
	v_lshl_or_b32 v97, v105, 8, v98
	v_cvt_f16_f32_e64 v108, v219
	v_or_b32_e32 v109, s2, v105
	ds_store_b16 v0, v101 offset:384
	ds_store_b16 v0, v108 offset:128
	s_waitcnt lgkmcnt(0)
	s_barrier
	ds_load_2addr_b64 v[98:101], v97 offset1:1
	ds_load_2addr_b64 v[102:105], v97 offset0:32 offset1:33
	v_mad_u64_u32 v[107:108], null, v109, s17, v[106:107]
	s_add_i32 s2, s5, s4
	s_mov_b32 s3, s11
	s_lshl_b32 s2, s2, 1
	s_mul_i32 s4, s17, 31
	v_cvt_f16_f32_e32 v89, v89
	v_cvt_f16_f32_e32 v90, v90
	s_delay_alu instid0(VALU_DEP_3)
	v_add_nc_u32_e32 v106, 4, v107
	v_add_nc_u32_e32 v108, s17, v107
	v_lshlrev_b32_e32 v107, 1, v107
	v_cvt_f16_f32_e32 v88, v88
	v_cvt_f16_f32_e32 v87, v87
	v_lshlrev_b32_e32 v109, 1, v106
	v_add_lshl_u32 v106, v106, s17, 1
	v_lshlrev_b32_e32 v110, 1, v108
	s_waitcnt lgkmcnt(1)
	s_clause 0x1
	buffer_store_b64 v[98:99], v107, s[0:3], 0 offen
	buffer_store_b64 v[100:101], v109, s[0:3], 0 offen
	s_waitcnt lgkmcnt(0)
	s_clause 0x1
	buffer_store_b64 v[104:105], v106, s[0:3], 0 offen
	buffer_store_b64 v[102:103], v110, s[0:3], 0 offen
	v_cvt_f16_f32_e64 v98, v227
	v_cvt_f16_f32_e64 v99, v228
	s_waitcnt lgkmcnt(0)
	s_waitcnt_vscnt null, 0x0
	s_barrier
	v_cvt_f16_f32_e64 v103, v232
	ds_store_b16 v0, v98
	v_cvt_f16_f32_e64 v98, v229
	ds_store_b16 v0, v99 offset:256
	v_cvt_f16_f32_e64 v99, v231
	v_cvt_f16_f32_e64 v105, v242
	;; [unrolled: 1-line block ×3, first 2 shown]
	ds_store_b16 v0, v98 offset:512
	v_cvt_f16_f32_e64 v106, v240
	ds_store_b16 v0, v99 offset:1024
	v_cvt_f16_f32_e64 v99, v233
	;; [unrolled: 2-line block ×3, first 2 shown]
	v_cvt_f16_f32_e64 v100, v235
	v_cvt_f16_f32_e64 v101, v236
	ds_store_b16 v0, v99 offset:1536
	v_cvt_f16_f32_e64 v102, v237
	v_cvt_f16_f32_e64 v98, v230
	;; [unrolled: 1-line block ×4, first 2 shown]
	ds_store_b16 v0, v105 offset:1920
	ds_store_b16 v0, v103 offset:1792
	ds_store_b16 v0, v107 offset:1664
	ds_store_b16 v0, v106 offset:1408
	ds_store_b16 v0, v104 offset:1152
	ds_store_b16 v0, v99 offset:896
	ds_store_b16 v0, v98 offset:768
	ds_store_b16 v0, v102 offset:640
	ds_store_b16 v0, v101 offset:384
	ds_store_b16 v0, v100 offset:128
	s_waitcnt lgkmcnt(0)
	s_barrier
	ds_load_2addr_b64 v[98:101], v97 offset1:1
	ds_load_2addr_b64 v[102:105], v97 offset0:32 offset1:33
	v_add_nc_u32_e32 v106, s4, v108
	v_cvt_f16_f32_e32 v86, v86
	v_cvt_f16_f32_e32 v81, v81
	v_cvt_f16_f32_e32 v82, v82
	v_cvt_f16_f32_e32 v83, v83
	v_add_nc_u32_e32 v107, 4, v106
	v_add_nc_u32_e32 v108, s17, v106
	v_lshlrev_b32_e32 v106, 1, v106
	v_cvt_f16_f32_e32 v85, v85
	v_cvt_f16_f32_e32 v84, v84
	v_lshlrev_b32_e32 v109, 1, v107
	v_add_lshl_u32 v107, v107, s17, 1
	v_lshlrev_b32_e32 v110, 1, v108
	s_waitcnt lgkmcnt(1)
	s_clause 0x1
	buffer_store_b64 v[98:99], v106, s[0:3], 0 offen
	buffer_store_b64 v[100:101], v109, s[0:3], 0 offen
	s_waitcnt lgkmcnt(0)
	s_clause 0x1
	buffer_store_b64 v[104:105], v107, s[0:3], 0 offen
	buffer_store_b64 v[102:103], v110, s[0:3], 0 offen
	s_waitcnt lgkmcnt(0)
	s_waitcnt_vscnt null, 0x0
	s_barrier
	ds_store_b16 v0, v89
	v_cvt_f16_f32_e32 v89, v91
	ds_store_b16 v0, v90 offset:256
	v_cvt_f16_f32_e32 v90, v93
	v_cvt_f16_f32_e32 v91, v94
	v_cvt_f16_f32_e32 v73, v73
	ds_store_b16 v0, v89 offset:512
	v_cvt_f16_f32_e32 v89, v92
	ds_store_b16 v0, v90 offset:1024
	v_cvt_f16_f32_e32 v90, v95
	ds_store_b16 v0, v91 offset:1280
	v_cvt_f16_f32_e32 v91, v96
	v_cvt_f16_f32_e32 v74, v74
	v_cvt_f16_f32_e32 v72, v72
	ds_store_b16 v0, v90 offset:1536
	ds_store_b16 v0, v88 offset:1920
	ds_store_b16 v0, v91 offset:1792
	ds_store_b16 v0, v87 offset:1664
	ds_store_b16 v0, v86 offset:1408
	ds_store_b16 v0, v85 offset:1152
	ds_store_b16 v0, v84 offset:896
	ds_store_b16 v0, v89 offset:768
	ds_store_b16 v0, v83 offset:640
	ds_store_b16 v0, v82 offset:384
	ds_store_b16 v0, v81 offset:128
	s_waitcnt lgkmcnt(0)
	s_barrier
	ds_load_2addr_b64 v[81:84], v97 offset1:1
	ds_load_2addr_b64 v[85:88], v97 offset0:32 offset1:33
	v_add_nc_u32_e32 v89, s4, v108
	v_cvt_f16_f32_e32 v71, v71
	v_cvt_f16_f32_e32 v70, v70
	v_cvt_f16_f32_e32 v65, v65
	v_cvt_f16_f32_e32 v66, v66
	v_add_nc_u32_e32 v90, 4, v89
	v_add_nc_u32_e32 v91, s17, v89
	v_lshlrev_b32_e32 v89, 1, v89
	v_cvt_f16_f32_e32 v67, v67
	v_cvt_f16_f32_e32 v69, v69
	v_lshlrev_b32_e32 v92, 1, v90
	v_add_lshl_u32 v90, v90, s17, 1
	v_lshlrev_b32_e32 v93, 1, v91
	s_waitcnt lgkmcnt(1)
	s_clause 0x1
	buffer_store_b64 v[81:82], v89, s[0:3], 0 offen
	buffer_store_b64 v[83:84], v92, s[0:3], 0 offen
	s_waitcnt lgkmcnt(0)
	s_clause 0x1
	buffer_store_b64 v[87:88], v90, s[0:3], 0 offen
	buffer_store_b64 v[85:86], v93, s[0:3], 0 offen
	s_waitcnt lgkmcnt(0)
	s_waitcnt_vscnt null, 0x0
	s_barrier
	ds_store_b16 v0, v73
	v_cvt_f16_f32_e32 v73, v75
	ds_store_b16 v0, v74 offset:256
	v_cvt_f16_f32_e32 v74, v77
	v_cvt_f16_f32_e32 v75, v78
	v_cvt_f16_f32_e32 v68, v68
	ds_store_b16 v0, v73 offset:512
	v_cvt_f16_f32_e32 v73, v76
	ds_store_b16 v0, v74 offset:1024
	v_cvt_f16_f32_e32 v74, v79
	ds_store_b16 v0, v75 offset:1280
	v_cvt_f16_f32_e32 v75, v80
	v_cvt_f16_f32_e32 v57, v57
	v_cvt_f16_f32_e32 v58, v58
	ds_store_b16 v0, v74 offset:1536
	;; [unrolled: 53-line block ×5, first 2 shown]
	v_cvt_f16_f32_e32 v25, v28
	ds_store_b16 v0, v24 offset:1920
	ds_store_b16 v0, v27 offset:1792
	;; [unrolled: 1-line block ×10, first 2 shown]
	s_waitcnt lgkmcnt(0)
	s_barrier
	ds_load_2addr_b64 v[17:20], v97 offset1:1
	ds_load_2addr_b64 v[21:24], v97 offset0:32 offset1:33
	v_add_nc_u32_e32 v25, s4, v43
	v_cvt_f16_f32_e32 v9, v9
	v_cvt_f16_f32_e32 v10, v10
	;; [unrolled: 1-line block ×4, first 2 shown]
	v_add_nc_u32_e32 v26, 4, v25
	v_add_nc_u32_e32 v27, s17, v25
	v_lshlrev_b32_e32 v25, 1, v25
	v_cvt_f16_f32_e32 v6, v6
	v_cvt_f16_f32_e32 v1, v1
	v_lshlrev_b32_e32 v28, 1, v26
	v_add_lshl_u32 v26, v26, s17, 1
	v_lshlrev_b32_e32 v29, 1, v27
	s_waitcnt lgkmcnt(1)
	s_clause 0x1
	buffer_store_b64 v[17:18], v25, s[0:3], 0 offen
	buffer_store_b64 v[19:20], v28, s[0:3], 0 offen
	s_waitcnt lgkmcnt(0)
	s_clause 0x1
	buffer_store_b64 v[23:24], v26, s[0:3], 0 offen
	buffer_store_b64 v[21:22], v29, s[0:3], 0 offen
	s_waitcnt lgkmcnt(0)
	s_waitcnt_vscnt null, 0x0
	s_barrier
	ds_store_b16 v0, v9
	v_cvt_f16_f32_e32 v9, v11
	ds_store_b16 v0, v10 offset:256
	v_cvt_f16_f32_e32 v10, v13
	v_cvt_f16_f32_e32 v11, v14
	;; [unrolled: 1-line block ×3, first 2 shown]
	ds_store_b16 v0, v9 offset:512
	v_cvt_f16_f32_e32 v3, v3
	ds_store_b16 v0, v10 offset:1024
	v_cvt_f16_f32_e32 v10, v15
	;; [unrolled: 2-line block ×3, first 2 shown]
	v_cvt_f16_f32_e32 v5, v5
	v_cvt_f16_f32_e32 v4, v4
	ds_store_b16 v0, v10 offset:1536
	v_cvt_f16_f32_e32 v9, v12
	ds_store_b16 v0, v8 offset:1920
	ds_store_b16 v0, v11 offset:1792
	;; [unrolled: 1-line block ×10, first 2 shown]
	s_waitcnt lgkmcnt(0)
	s_barrier
	ds_load_2addr_b64 v[0:3], v97 offset1:1
	ds_load_2addr_b64 v[4:7], v97 offset0:32 offset1:33
	v_add_nc_u32_e32 v8, s4, v27
	s_delay_alu instid0(VALU_DEP_1) | instskip(SKIP_2) | instid1(VALU_DEP_3)
	v_add_nc_u32_e32 v9, 4, v8
	v_lshlrev_b32_e32 v10, 1, v8
	v_add_lshl_u32 v8, v8, s17, 1
	v_lshlrev_b32_e32 v11, 1, v9
	v_add_lshl_u32 v9, v9, s17, 1
	s_waitcnt lgkmcnt(1)
	s_clause 0x1
	buffer_store_b64 v[0:1], v10, s[0:3], 0 offen
	buffer_store_b64 v[2:3], v11, s[0:3], 0 offen
	s_waitcnt lgkmcnt(0)
	s_clause 0x1
	buffer_store_b64 v[6:7], v9, s[0:3], 0 offen
	buffer_store_b64 v[4:5], v8, s[0:3], 0 offen
	s_nop 0
	s_sendmsg sendmsg(MSG_DEALLOC_VGPRS)
	s_endpgm
	.section	.rodata,"a",@progbits
	.p2align	6, 0x0
	.amdhsa_kernel _ZN2ck27kernel_gemm_xdl_cshuffle_v1INS_43GridwiseGemm_k0mk1_k0nk1_mn_xdl_cshuffle_v1INS_13tensor_layout4gemm8RowMajorES4_S4_DF16_DF16_fDF16_DF16_NS_16tensor_operation12element_wise11PassThroughES7_S7_LNS5_6device18GemmSpecializationE0ELNS_25InMemoryDataOperationEnumE0ELi1ELi256ELi256ELi128ELi32ELi8ELi2ELi16ELi16ELi8ELi2ENS_8SequenceIJLi4ELi64ELi1EEEENSB_IJLi1ELi0ELi2EEEESD_Li2ELi8ELi8ELb0ELi1ENSB_IJLi8ELi32ELi1EEEENSB_IJLi0ELi2ELi1EEEESF_Li1ELi4ELi2ELb0ELi0ELi1ELi2ENSB_IJLi1ELi16ELi1ELi16EEEELi4ELNS_13LoopSchedulerE1ELNS_15PipelineVersionE0EDF16_DF16_EELb0EEEvNT_8ArgumentE
		.amdhsa_group_segment_fixed_size 24624
		.amdhsa_private_segment_fixed_size 0
		.amdhsa_kernarg_size 96
		.amdhsa_user_sgpr_count 15
		.amdhsa_user_sgpr_dispatch_ptr 0
		.amdhsa_user_sgpr_queue_ptr 0
		.amdhsa_user_sgpr_kernarg_segment_ptr 1
		.amdhsa_user_sgpr_dispatch_id 0
		.amdhsa_user_sgpr_private_segment_size 0
		.amdhsa_wavefront_size32 1
		.amdhsa_uses_dynamic_stack 0
		.amdhsa_enable_private_segment 0
		.amdhsa_system_sgpr_workgroup_id_x 1
		.amdhsa_system_sgpr_workgroup_id_y 0
		.amdhsa_system_sgpr_workgroup_id_z 0
		.amdhsa_system_sgpr_workgroup_info 0
		.amdhsa_system_vgpr_workitem_id 0
		.amdhsa_next_free_vgpr 252
		.amdhsa_next_free_sgpr 28
		.amdhsa_reserve_vcc 0
		.amdhsa_float_round_mode_32 0
		.amdhsa_float_round_mode_16_64 0
		.amdhsa_float_denorm_mode_32 3
		.amdhsa_float_denorm_mode_16_64 3
		.amdhsa_dx10_clamp 1
		.amdhsa_ieee_mode 1
		.amdhsa_fp16_overflow 0
		.amdhsa_workgroup_processor_mode 1
		.amdhsa_memory_ordered 1
		.amdhsa_forward_progress 0
		.amdhsa_shared_vgpr_count 0
		.amdhsa_exception_fp_ieee_invalid_op 0
		.amdhsa_exception_fp_denorm_src 0
		.amdhsa_exception_fp_ieee_div_zero 0
		.amdhsa_exception_fp_ieee_overflow 0
		.amdhsa_exception_fp_ieee_underflow 0
		.amdhsa_exception_fp_ieee_inexact 0
		.amdhsa_exception_int_div_zero 0
	.end_amdhsa_kernel
	.section	.text._ZN2ck27kernel_gemm_xdl_cshuffle_v1INS_43GridwiseGemm_k0mk1_k0nk1_mn_xdl_cshuffle_v1INS_13tensor_layout4gemm8RowMajorES4_S4_DF16_DF16_fDF16_DF16_NS_16tensor_operation12element_wise11PassThroughES7_S7_LNS5_6device18GemmSpecializationE0ELNS_25InMemoryDataOperationEnumE0ELi1ELi256ELi256ELi128ELi32ELi8ELi2ELi16ELi16ELi8ELi2ENS_8SequenceIJLi4ELi64ELi1EEEENSB_IJLi1ELi0ELi2EEEESD_Li2ELi8ELi8ELb0ELi1ENSB_IJLi8ELi32ELi1EEEENSB_IJLi0ELi2ELi1EEEESF_Li1ELi4ELi2ELb0ELi0ELi1ELi2ENSB_IJLi1ELi16ELi1ELi16EEEELi4ELNS_13LoopSchedulerE1ELNS_15PipelineVersionE0EDF16_DF16_EELb0EEEvNT_8ArgumentE,"axG",@progbits,_ZN2ck27kernel_gemm_xdl_cshuffle_v1INS_43GridwiseGemm_k0mk1_k0nk1_mn_xdl_cshuffle_v1INS_13tensor_layout4gemm8RowMajorES4_S4_DF16_DF16_fDF16_DF16_NS_16tensor_operation12element_wise11PassThroughES7_S7_LNS5_6device18GemmSpecializationE0ELNS_25InMemoryDataOperationEnumE0ELi1ELi256ELi256ELi128ELi32ELi8ELi2ELi16ELi16ELi8ELi2ENS_8SequenceIJLi4ELi64ELi1EEEENSB_IJLi1ELi0ELi2EEEESD_Li2ELi8ELi8ELb0ELi1ENSB_IJLi8ELi32ELi1EEEENSB_IJLi0ELi2ELi1EEEESF_Li1ELi4ELi2ELb0ELi0ELi1ELi2ENSB_IJLi1ELi16ELi1ELi16EEEELi4ELNS_13LoopSchedulerE1ELNS_15PipelineVersionE0EDF16_DF16_EELb0EEEvNT_8ArgumentE,comdat
.Lfunc_end4:
	.size	_ZN2ck27kernel_gemm_xdl_cshuffle_v1INS_43GridwiseGemm_k0mk1_k0nk1_mn_xdl_cshuffle_v1INS_13tensor_layout4gemm8RowMajorES4_S4_DF16_DF16_fDF16_DF16_NS_16tensor_operation12element_wise11PassThroughES7_S7_LNS5_6device18GemmSpecializationE0ELNS_25InMemoryDataOperationEnumE0ELi1ELi256ELi256ELi128ELi32ELi8ELi2ELi16ELi16ELi8ELi2ENS_8SequenceIJLi4ELi64ELi1EEEENSB_IJLi1ELi0ELi2EEEESD_Li2ELi8ELi8ELb0ELi1ENSB_IJLi8ELi32ELi1EEEENSB_IJLi0ELi2ELi1EEEESF_Li1ELi4ELi2ELb0ELi0ELi1ELi2ENSB_IJLi1ELi16ELi1ELi16EEEELi4ELNS_13LoopSchedulerE1ELNS_15PipelineVersionE0EDF16_DF16_EELb0EEEvNT_8ArgumentE, .Lfunc_end4-_ZN2ck27kernel_gemm_xdl_cshuffle_v1INS_43GridwiseGemm_k0mk1_k0nk1_mn_xdl_cshuffle_v1INS_13tensor_layout4gemm8RowMajorES4_S4_DF16_DF16_fDF16_DF16_NS_16tensor_operation12element_wise11PassThroughES7_S7_LNS5_6device18GemmSpecializationE0ELNS_25InMemoryDataOperationEnumE0ELi1ELi256ELi256ELi128ELi32ELi8ELi2ELi16ELi16ELi8ELi2ENS_8SequenceIJLi4ELi64ELi1EEEENSB_IJLi1ELi0ELi2EEEESD_Li2ELi8ELi8ELb0ELi1ENSB_IJLi8ELi32ELi1EEEENSB_IJLi0ELi2ELi1EEEESF_Li1ELi4ELi2ELb0ELi0ELi1ELi2ENSB_IJLi1ELi16ELi1ELi16EEEELi4ELNS_13LoopSchedulerE1ELNS_15PipelineVersionE0EDF16_DF16_EELb0EEEvNT_8ArgumentE
                                        ; -- End function
	.section	.AMDGPU.csdata,"",@progbits
; Kernel info:
; codeLenInByte = 4676
; NumSgprs: 28
; NumVgprs: 252
; ScratchSize: 0
; MemoryBound: 0
; FloatMode: 240
; IeeeMode: 1
; LDSByteSize: 24624 bytes/workgroup (compile time only)
; SGPRBlocks: 3
; VGPRBlocks: 31
; NumSGPRsForWavesPerEU: 28
; NumVGPRsForWavesPerEU: 252
; Occupancy: 5
; WaveLimiterHint : 0
; COMPUTE_PGM_RSRC2:SCRATCH_EN: 0
; COMPUTE_PGM_RSRC2:USER_SGPR: 15
; COMPUTE_PGM_RSRC2:TRAP_HANDLER: 0
; COMPUTE_PGM_RSRC2:TGID_X_EN: 1
; COMPUTE_PGM_RSRC2:TGID_Y_EN: 0
; COMPUTE_PGM_RSRC2:TGID_Z_EN: 0
; COMPUTE_PGM_RSRC2:TIDIG_COMP_CNT: 0
	.section	.text._ZN2ck17naive_gemm_kernelINS_13tensor_layout4gemm8RowMajorES3_S3_DF16_DF16_DF16_fNS_16tensor_operation12element_wise11PassThroughES6_S6_DF16_DF16_EEvPKT2_PKT3_PT4_iiiT6_T7_T8_,"axG",@progbits,_ZN2ck17naive_gemm_kernelINS_13tensor_layout4gemm8RowMajorES3_S3_DF16_DF16_DF16_fNS_16tensor_operation12element_wise11PassThroughES6_S6_DF16_DF16_EEvPKT2_PKT3_PT4_iiiT6_T7_T8_,comdat
	.protected	_ZN2ck17naive_gemm_kernelINS_13tensor_layout4gemm8RowMajorES3_S3_DF16_DF16_DF16_fNS_16tensor_operation12element_wise11PassThroughES6_S6_DF16_DF16_EEvPKT2_PKT3_PT4_iiiT6_T7_T8_ ; -- Begin function _ZN2ck17naive_gemm_kernelINS_13tensor_layout4gemm8RowMajorES3_S3_DF16_DF16_DF16_fNS_16tensor_operation12element_wise11PassThroughES6_S6_DF16_DF16_EEvPKT2_PKT3_PT4_iiiT6_T7_T8_
	.globl	_ZN2ck17naive_gemm_kernelINS_13tensor_layout4gemm8RowMajorES3_S3_DF16_DF16_DF16_fNS_16tensor_operation12element_wise11PassThroughES6_S6_DF16_DF16_EEvPKT2_PKT3_PT4_iiiT6_T7_T8_
	.p2align	8
	.type	_ZN2ck17naive_gemm_kernelINS_13tensor_layout4gemm8RowMajorES3_S3_DF16_DF16_DF16_fNS_16tensor_operation12element_wise11PassThroughES6_S6_DF16_DF16_EEvPKT2_PKT3_PT4_iiiT6_T7_T8_,@function
_ZN2ck17naive_gemm_kernelINS_13tensor_layout4gemm8RowMajorES3_S3_DF16_DF16_DF16_fNS_16tensor_operation12element_wise11PassThroughES6_S6_DF16_DF16_EEvPKT2_PKT3_PT4_iiiT6_T7_T8_: ; @_ZN2ck17naive_gemm_kernelINS_13tensor_layout4gemm8RowMajorES3_S3_DF16_DF16_DF16_fNS_16tensor_operation12element_wise11PassThroughES6_S6_DF16_DF16_EEvPKT2_PKT3_PT4_iiiT6_T7_T8_
; %bb.0:
	s_clause 0x1
	s_load_b32 s2, s[0:1], 0x34
	s_load_b128 s[4:7], s[0:1], 0x18
	v_and_b32_e32 v2, 0x3ff, v0
	v_bfe_u32 v3, v0, 10, 10
	s_waitcnt lgkmcnt(0)
	s_lshr_b32 s3, s2, 16
	s_and_b32 s2, s2, 0xffff
	s_delay_alu instid0(VALU_DEP_1) | instid1(SALU_CYCLE_1)
	v_mad_u64_u32 v[0:1], null, s14, s2, v[2:3]
	v_mad_u64_u32 v[1:2], null, s15, s3, v[3:4]
	s_delay_alu instid0(VALU_DEP_2) | instskip(NEXT) | instid1(VALU_DEP_2)
	v_cmp_gt_i32_e32 vcc_lo, s4, v0
	v_cmp_gt_i32_e64 s2, s5, v1
	s_delay_alu instid0(VALU_DEP_1) | instskip(NEXT) | instid1(SALU_CYCLE_1)
	s_and_b32 s2, vcc_lo, s2
	s_and_saveexec_b32 s3, s2
	s_cbranch_execz .LBB5_7
; %bb.1:
	s_load_b64 s[8:9], s[0:1], 0x10
	s_cmp_lt_i32 s6, 1
	s_cbranch_scc1 .LBB5_5
; %bb.2:
	s_load_b128 s[0:3], s[0:1], 0x0
	v_mul_lo_u32 v2, v0, s6
	v_mov_b32_e32 v6, 0
	v_mov_b32_e32 v4, v1
	s_delay_alu instid0(VALU_DEP_3) | instskip(NEXT) | instid1(VALU_DEP_1)
	v_ashrrev_i32_e32 v3, 31, v2
	v_lshlrev_b64 v[2:3], 1, v[2:3]
	s_waitcnt lgkmcnt(0)
	s_delay_alu instid0(VALU_DEP_1) | instskip(NEXT) | instid1(VALU_DEP_2)
	v_add_co_u32 v2, vcc_lo, s0, v2
	v_add_co_ci_u32_e32 v3, vcc_lo, s1, v3, vcc_lo
	.p2align	6
.LBB5_3:                                ; =>This Inner Loop Header: Depth=1
	v_ashrrev_i32_e32 v5, 31, v4
	s_add_i32 s6, s6, -1
	s_delay_alu instid0(SALU_CYCLE_1) | instskip(NEXT) | instid1(VALU_DEP_1)
	s_cmp_eq_u32 s6, 0
	v_lshlrev_b64 v[7:8], 1, v[4:5]
	v_add_nc_u32_e32 v4, s5, v4
	s_delay_alu instid0(VALU_DEP_2) | instskip(NEXT) | instid1(VALU_DEP_3)
	v_add_co_u32 v7, vcc_lo, s2, v7
	v_add_co_ci_u32_e32 v8, vcc_lo, s3, v8, vcc_lo
	global_load_u16 v5, v[2:3], off
	global_load_u16 v7, v[7:8], off
	v_add_co_u32 v2, vcc_lo, v2, 2
	v_add_co_ci_u32_e32 v3, vcc_lo, 0, v3, vcc_lo
	s_waitcnt vmcnt(0)
	v_fma_mix_f32 v6, v5, v7, v6 op_sel_hi:[1,1,0]
	s_cbranch_scc0 .LBB5_3
; %bb.4:
	s_delay_alu instid0(VALU_DEP_1)
	v_cvt_f16_f32_e32 v2, v6
	s_branch .LBB5_6
.LBB5_5:
	v_mov_b32_e32 v2, 0
.LBB5_6:
	s_delay_alu instid0(VALU_DEP_1) | instskip(NEXT) | instid1(VALU_DEP_1)
	v_mad_u64_u32 v[3:4], null, v0, s5, v[1:2]
	v_ashrrev_i32_e32 v4, 31, v3
	s_delay_alu instid0(VALU_DEP_1) | instskip(SKIP_1) | instid1(VALU_DEP_1)
	v_lshlrev_b64 v[0:1], 1, v[3:4]
	s_waitcnt lgkmcnt(0)
	v_add_co_u32 v0, vcc_lo, s8, v0
	s_delay_alu instid0(VALU_DEP_2)
	v_add_co_ci_u32_e32 v1, vcc_lo, s9, v1, vcc_lo
	global_store_b16 v[0:1], v2, off
.LBB5_7:
	s_nop 0
	s_sendmsg sendmsg(MSG_DEALLOC_VGPRS)
	s_endpgm
	.section	.rodata,"a",@progbits
	.p2align	6, 0x0
	.amdhsa_kernel _ZN2ck17naive_gemm_kernelINS_13tensor_layout4gemm8RowMajorES3_S3_DF16_DF16_DF16_fNS_16tensor_operation12element_wise11PassThroughES6_S6_DF16_DF16_EEvPKT2_PKT3_PT4_iiiT6_T7_T8_
		.amdhsa_group_segment_fixed_size 0
		.amdhsa_private_segment_fixed_size 0
		.amdhsa_kernarg_size 296
		.amdhsa_user_sgpr_count 14
		.amdhsa_user_sgpr_dispatch_ptr 0
		.amdhsa_user_sgpr_queue_ptr 0
		.amdhsa_user_sgpr_kernarg_segment_ptr 1
		.amdhsa_user_sgpr_dispatch_id 0
		.amdhsa_user_sgpr_private_segment_size 0
		.amdhsa_wavefront_size32 1
		.amdhsa_uses_dynamic_stack 0
		.amdhsa_enable_private_segment 0
		.amdhsa_system_sgpr_workgroup_id_x 1
		.amdhsa_system_sgpr_workgroup_id_y 1
		.amdhsa_system_sgpr_workgroup_id_z 0
		.amdhsa_system_sgpr_workgroup_info 0
		.amdhsa_system_vgpr_workitem_id 1
		.amdhsa_next_free_vgpr 9
		.amdhsa_next_free_sgpr 16
		.amdhsa_reserve_vcc 1
		.amdhsa_float_round_mode_32 0
		.amdhsa_float_round_mode_16_64 0
		.amdhsa_float_denorm_mode_32 3
		.amdhsa_float_denorm_mode_16_64 3
		.amdhsa_dx10_clamp 1
		.amdhsa_ieee_mode 1
		.amdhsa_fp16_overflow 0
		.amdhsa_workgroup_processor_mode 1
		.amdhsa_memory_ordered 1
		.amdhsa_forward_progress 0
		.amdhsa_shared_vgpr_count 0
		.amdhsa_exception_fp_ieee_invalid_op 0
		.amdhsa_exception_fp_denorm_src 0
		.amdhsa_exception_fp_ieee_div_zero 0
		.amdhsa_exception_fp_ieee_overflow 0
		.amdhsa_exception_fp_ieee_underflow 0
		.amdhsa_exception_fp_ieee_inexact 0
		.amdhsa_exception_int_div_zero 0
	.end_amdhsa_kernel
	.section	.text._ZN2ck17naive_gemm_kernelINS_13tensor_layout4gemm8RowMajorES3_S3_DF16_DF16_DF16_fNS_16tensor_operation12element_wise11PassThroughES6_S6_DF16_DF16_EEvPKT2_PKT3_PT4_iiiT6_T7_T8_,"axG",@progbits,_ZN2ck17naive_gemm_kernelINS_13tensor_layout4gemm8RowMajorES3_S3_DF16_DF16_DF16_fNS_16tensor_operation12element_wise11PassThroughES6_S6_DF16_DF16_EEvPKT2_PKT3_PT4_iiiT6_T7_T8_,comdat
.Lfunc_end5:
	.size	_ZN2ck17naive_gemm_kernelINS_13tensor_layout4gemm8RowMajorES3_S3_DF16_DF16_DF16_fNS_16tensor_operation12element_wise11PassThroughES6_S6_DF16_DF16_EEvPKT2_PKT3_PT4_iiiT6_T7_T8_, .Lfunc_end5-_ZN2ck17naive_gemm_kernelINS_13tensor_layout4gemm8RowMajorES3_S3_DF16_DF16_DF16_fNS_16tensor_operation12element_wise11PassThroughES6_S6_DF16_DF16_EEvPKT2_PKT3_PT4_iiiT6_T7_T8_
                                        ; -- End function
	.section	.AMDGPU.csdata,"",@progbits
; Kernel info:
; codeLenInByte = 352
; NumSgprs: 18
; NumVgprs: 9
; ScratchSize: 0
; MemoryBound: 0
; FloatMode: 240
; IeeeMode: 1
; LDSByteSize: 0 bytes/workgroup (compile time only)
; SGPRBlocks: 2
; VGPRBlocks: 1
; NumSGPRsForWavesPerEU: 18
; NumVGPRsForWavesPerEU: 9
; Occupancy: 16
; WaveLimiterHint : 0
; COMPUTE_PGM_RSRC2:SCRATCH_EN: 0
; COMPUTE_PGM_RSRC2:USER_SGPR: 14
; COMPUTE_PGM_RSRC2:TRAP_HANDLER: 0
; COMPUTE_PGM_RSRC2:TGID_X_EN: 1
; COMPUTE_PGM_RSRC2:TGID_Y_EN: 1
; COMPUTE_PGM_RSRC2:TGID_Z_EN: 0
; COMPUTE_PGM_RSRC2:TIDIG_COMP_CNT: 1
	.text
	.p2alignl 7, 3214868480
	.fill 96, 4, 3214868480
	.type	__hip_cuid_518a7fb23e4afbf6,@object ; @__hip_cuid_518a7fb23e4afbf6
	.section	.bss,"aw",@nobits
	.globl	__hip_cuid_518a7fb23e4afbf6
__hip_cuid_518a7fb23e4afbf6:
	.byte	0                               ; 0x0
	.size	__hip_cuid_518a7fb23e4afbf6, 1

	.ident	"AMD clang version 19.0.0git (https://github.com/RadeonOpenCompute/llvm-project roc-6.4.0 25133 c7fe45cf4b819c5991fe208aaa96edf142730f1d)"
	.section	".note.GNU-stack","",@progbits
	.addrsig
	.addrsig_sym __hip_cuid_518a7fb23e4afbf6
	.amdgpu_metadata
---
amdhsa.kernels:
  - .args:           []
    .group_segment_fixed_size: 0
    .kernarg_segment_align: 4
    .kernarg_segment_size: 0
    .language:       OpenCL C
    .language_version:
      - 2
      - 0
    .max_flat_workgroup_size: 1024
    .name:           _ZN2ckL12flush_icacheEv
    .private_segment_fixed_size: 0
    .sgpr_count:     0
    .sgpr_spill_count: 0
    .symbol:         _ZN2ckL12flush_icacheEv.kd
    .uniform_work_group_size: 1
    .uses_dynamic_stack: false
    .vgpr_count:     0
    .vgpr_spill_count: 0
    .wavefront_size: 32
    .workgroup_processor_mode: 1
  - .args:
      - .offset:         0
        .size:           96
        .value_kind:     by_value
    .group_segment_fixed_size: 0
    .kernarg_segment_align: 8
    .kernarg_segment_size: 96
    .language:       OpenCL C
    .language_version:
      - 2
      - 0
    .max_flat_workgroup_size: 256
    .name:           _ZN2ck27kernel_gemm_xdl_cshuffle_v1INS_43GridwiseGemm_k0mk1_k0nk1_mn_xdl_cshuffle_v1INS_13tensor_layout4gemm8RowMajorES4_S4_DF16_DF16_fDF16_DF16_NS_16tensor_operation12element_wise11PassThroughES7_S7_LNS5_6device18GemmSpecializationE0ELNS_25InMemoryDataOperationEnumE0ELi1ELi256ELi256ELi128ELi32ELi8ELi2ELi16ELi16ELi8ELi4ENS_8SequenceIJLi4ELi64ELi1EEEENSB_IJLi1ELi0ELi2EEEESD_Li2ELi8ELi8ELb0ELi1ENSB_IJLi8ELi32ELi1EEEENSB_IJLi0ELi2ELi1EEEESF_Li1ELi4ELi2ELb0ELi0ELi1ELi2ENSB_IJLi1ELi16ELi1ELi16EEEELi4ELNS_13LoopSchedulerE1ELNS_15PipelineVersionE0EDF16_DF16_EELb1EEEvNT_8ArgumentE
    .private_segment_fixed_size: 0
    .sgpr_count:     0
    .sgpr_spill_count: 0
    .symbol:         _ZN2ck27kernel_gemm_xdl_cshuffle_v1INS_43GridwiseGemm_k0mk1_k0nk1_mn_xdl_cshuffle_v1INS_13tensor_layout4gemm8RowMajorES4_S4_DF16_DF16_fDF16_DF16_NS_16tensor_operation12element_wise11PassThroughES7_S7_LNS5_6device18GemmSpecializationE0ELNS_25InMemoryDataOperationEnumE0ELi1ELi256ELi256ELi128ELi32ELi8ELi2ELi16ELi16ELi8ELi4ENS_8SequenceIJLi4ELi64ELi1EEEENSB_IJLi1ELi0ELi2EEEESD_Li2ELi8ELi8ELb0ELi1ENSB_IJLi8ELi32ELi1EEEENSB_IJLi0ELi2ELi1EEEESF_Li1ELi4ELi2ELb0ELi0ELi1ELi2ENSB_IJLi1ELi16ELi1ELi16EEEELi4ELNS_13LoopSchedulerE1ELNS_15PipelineVersionE0EDF16_DF16_EELb1EEEvNT_8ArgumentE.kd
    .uniform_work_group_size: 1
    .uses_dynamic_stack: false
    .vgpr_count:     0
    .vgpr_spill_count: 0
    .wavefront_size: 32
    .workgroup_processor_mode: 1
  - .args:
      - .offset:         0
        .size:           96
        .value_kind:     by_value
    .group_segment_fixed_size: 0
    .kernarg_segment_align: 8
    .kernarg_segment_size: 96
    .language:       OpenCL C
    .language_version:
      - 2
      - 0
    .max_flat_workgroup_size: 256
    .name:           _ZN2ck27kernel_gemm_xdl_cshuffle_v1INS_43GridwiseGemm_k0mk1_k0nk1_mn_xdl_cshuffle_v1INS_13tensor_layout4gemm8RowMajorES4_S4_DF16_DF16_fDF16_DF16_NS_16tensor_operation12element_wise11PassThroughES7_S7_LNS5_6device18GemmSpecializationE0ELNS_25InMemoryDataOperationEnumE0ELi1ELi256ELi256ELi128ELi32ELi8ELi2ELi16ELi16ELi8ELi4ENS_8SequenceIJLi4ELi64ELi1EEEENSB_IJLi1ELi0ELi2EEEESD_Li2ELi8ELi8ELb0ELi1ENSB_IJLi8ELi32ELi1EEEENSB_IJLi0ELi2ELi1EEEESF_Li1ELi4ELi2ELb0ELi0ELi1ELi2ENSB_IJLi1ELi16ELi1ELi16EEEELi4ELNS_13LoopSchedulerE1ELNS_15PipelineVersionE0EDF16_DF16_EELb0EEEvNT_8ArgumentE
    .private_segment_fixed_size: 0
    .sgpr_count:     0
    .sgpr_spill_count: 0
    .symbol:         _ZN2ck27kernel_gemm_xdl_cshuffle_v1INS_43GridwiseGemm_k0mk1_k0nk1_mn_xdl_cshuffle_v1INS_13tensor_layout4gemm8RowMajorES4_S4_DF16_DF16_fDF16_DF16_NS_16tensor_operation12element_wise11PassThroughES7_S7_LNS5_6device18GemmSpecializationE0ELNS_25InMemoryDataOperationEnumE0ELi1ELi256ELi256ELi128ELi32ELi8ELi2ELi16ELi16ELi8ELi4ENS_8SequenceIJLi4ELi64ELi1EEEENSB_IJLi1ELi0ELi2EEEESD_Li2ELi8ELi8ELb0ELi1ENSB_IJLi8ELi32ELi1EEEENSB_IJLi0ELi2ELi1EEEESF_Li1ELi4ELi2ELb0ELi0ELi1ELi2ENSB_IJLi1ELi16ELi1ELi16EEEELi4ELNS_13LoopSchedulerE1ELNS_15PipelineVersionE0EDF16_DF16_EELb0EEEvNT_8ArgumentE.kd
    .uniform_work_group_size: 1
    .uses_dynamic_stack: false
    .vgpr_count:     0
    .vgpr_spill_count: 0
    .wavefront_size: 32
    .workgroup_processor_mode: 1
  - .args:
      - .offset:         0
        .size:           96
        .value_kind:     by_value
    .group_segment_fixed_size: 24624
    .kernarg_segment_align: 8
    .kernarg_segment_size: 96
    .language:       OpenCL C
    .language_version:
      - 2
      - 0
    .max_flat_workgroup_size: 256
    .name:           _ZN2ck27kernel_gemm_xdl_cshuffle_v1INS_43GridwiseGemm_k0mk1_k0nk1_mn_xdl_cshuffle_v1INS_13tensor_layout4gemm8RowMajorES4_S4_DF16_DF16_fDF16_DF16_NS_16tensor_operation12element_wise11PassThroughES7_S7_LNS5_6device18GemmSpecializationE0ELNS_25InMemoryDataOperationEnumE0ELi1ELi256ELi256ELi128ELi32ELi8ELi2ELi16ELi16ELi8ELi2ENS_8SequenceIJLi4ELi64ELi1EEEENSB_IJLi1ELi0ELi2EEEESD_Li2ELi8ELi8ELb0ELi1ENSB_IJLi8ELi32ELi1EEEENSB_IJLi0ELi2ELi1EEEESF_Li1ELi4ELi2ELb0ELi0ELi1ELi2ENSB_IJLi1ELi16ELi1ELi16EEEELi4ELNS_13LoopSchedulerE1ELNS_15PipelineVersionE0EDF16_DF16_EELb1EEEvNT_8ArgumentE
    .private_segment_fixed_size: 636
    .sgpr_count:     25
    .sgpr_spill_count: 0
    .symbol:         _ZN2ck27kernel_gemm_xdl_cshuffle_v1INS_43GridwiseGemm_k0mk1_k0nk1_mn_xdl_cshuffle_v1INS_13tensor_layout4gemm8RowMajorES4_S4_DF16_DF16_fDF16_DF16_NS_16tensor_operation12element_wise11PassThroughES7_S7_LNS5_6device18GemmSpecializationE0ELNS_25InMemoryDataOperationEnumE0ELi1ELi256ELi256ELi128ELi32ELi8ELi2ELi16ELi16ELi8ELi2ENS_8SequenceIJLi4ELi64ELi1EEEENSB_IJLi1ELi0ELi2EEEESD_Li2ELi8ELi8ELb0ELi1ENSB_IJLi8ELi32ELi1EEEENSB_IJLi0ELi2ELi1EEEESF_Li1ELi4ELi2ELb0ELi0ELi1ELi2ENSB_IJLi1ELi16ELi1ELi16EEEELi4ELNS_13LoopSchedulerE1ELNS_15PipelineVersionE0EDF16_DF16_EELb1EEEvNT_8ArgumentE.kd
    .uniform_work_group_size: 1
    .uses_dynamic_stack: false
    .vgpr_count:     256
    .vgpr_spill_count: 286
    .wavefront_size: 32
    .workgroup_processor_mode: 1
  - .args:
      - .offset:         0
        .size:           96
        .value_kind:     by_value
    .group_segment_fixed_size: 24624
    .kernarg_segment_align: 8
    .kernarg_segment_size: 96
    .language:       OpenCL C
    .language_version:
      - 2
      - 0
    .max_flat_workgroup_size: 256
    .name:           _ZN2ck27kernel_gemm_xdl_cshuffle_v1INS_43GridwiseGemm_k0mk1_k0nk1_mn_xdl_cshuffle_v1INS_13tensor_layout4gemm8RowMajorES4_S4_DF16_DF16_fDF16_DF16_NS_16tensor_operation12element_wise11PassThroughES7_S7_LNS5_6device18GemmSpecializationE0ELNS_25InMemoryDataOperationEnumE0ELi1ELi256ELi256ELi128ELi32ELi8ELi2ELi16ELi16ELi8ELi2ENS_8SequenceIJLi4ELi64ELi1EEEENSB_IJLi1ELi0ELi2EEEESD_Li2ELi8ELi8ELb0ELi1ENSB_IJLi8ELi32ELi1EEEENSB_IJLi0ELi2ELi1EEEESF_Li1ELi4ELi2ELb0ELi0ELi1ELi2ENSB_IJLi1ELi16ELi1ELi16EEEELi4ELNS_13LoopSchedulerE1ELNS_15PipelineVersionE0EDF16_DF16_EELb0EEEvNT_8ArgumentE
    .private_segment_fixed_size: 0
    .sgpr_count:     28
    .sgpr_spill_count: 0
    .symbol:         _ZN2ck27kernel_gemm_xdl_cshuffle_v1INS_43GridwiseGemm_k0mk1_k0nk1_mn_xdl_cshuffle_v1INS_13tensor_layout4gemm8RowMajorES4_S4_DF16_DF16_fDF16_DF16_NS_16tensor_operation12element_wise11PassThroughES7_S7_LNS5_6device18GemmSpecializationE0ELNS_25InMemoryDataOperationEnumE0ELi1ELi256ELi256ELi128ELi32ELi8ELi2ELi16ELi16ELi8ELi2ENS_8SequenceIJLi4ELi64ELi1EEEENSB_IJLi1ELi0ELi2EEEESD_Li2ELi8ELi8ELb0ELi1ENSB_IJLi8ELi32ELi1EEEENSB_IJLi0ELi2ELi1EEEESF_Li1ELi4ELi2ELb0ELi0ELi1ELi2ENSB_IJLi1ELi16ELi1ELi16EEEELi4ELNS_13LoopSchedulerE1ELNS_15PipelineVersionE0EDF16_DF16_EELb0EEEvNT_8ArgumentE.kd
    .uniform_work_group_size: 1
    .uses_dynamic_stack: false
    .vgpr_count:     252
    .vgpr_spill_count: 0
    .wavefront_size: 32
    .workgroup_processor_mode: 1
  - .args:
      - .actual_access:  read_only
        .address_space:  global
        .offset:         0
        .size:           8
        .value_kind:     global_buffer
      - .actual_access:  read_only
        .address_space:  global
        .offset:         8
        .size:           8
        .value_kind:     global_buffer
      - .actual_access:  write_only
        .address_space:  global
        .offset:         16
        .size:           8
        .value_kind:     global_buffer
      - .offset:         24
        .size:           4
        .value_kind:     by_value
      - .offset:         28
        .size:           4
        .value_kind:     by_value
      - .offset:         32
        .size:           4
        .value_kind:     by_value
      - .offset:         36
        .size:           1
        .value_kind:     by_value
      - .offset:         37
        .size:           1
        .value_kind:     by_value
      - .offset:         38
        .size:           1
        .value_kind:     by_value
      - .offset:         40
        .size:           4
        .value_kind:     hidden_block_count_x
      - .offset:         44
        .size:           4
        .value_kind:     hidden_block_count_y
      - .offset:         48
        .size:           4
        .value_kind:     hidden_block_count_z
      - .offset:         52
        .size:           2
        .value_kind:     hidden_group_size_x
      - .offset:         54
        .size:           2
        .value_kind:     hidden_group_size_y
      - .offset:         56
        .size:           2
        .value_kind:     hidden_group_size_z
      - .offset:         58
        .size:           2
        .value_kind:     hidden_remainder_x
      - .offset:         60
        .size:           2
        .value_kind:     hidden_remainder_y
      - .offset:         62
        .size:           2
        .value_kind:     hidden_remainder_z
      - .offset:         80
        .size:           8
        .value_kind:     hidden_global_offset_x
      - .offset:         88
        .size:           8
        .value_kind:     hidden_global_offset_y
      - .offset:         96
        .size:           8
        .value_kind:     hidden_global_offset_z
      - .offset:         104
        .size:           2
        .value_kind:     hidden_grid_dims
    .group_segment_fixed_size: 0
    .kernarg_segment_align: 8
    .kernarg_segment_size: 296
    .language:       OpenCL C
    .language_version:
      - 2
      - 0
    .max_flat_workgroup_size: 256
    .name:           _ZN2ck17naive_gemm_kernelINS_13tensor_layout4gemm8RowMajorES3_S3_DF16_DF16_DF16_fNS_16tensor_operation12element_wise11PassThroughES6_S6_DF16_DF16_EEvPKT2_PKT3_PT4_iiiT6_T7_T8_
    .private_segment_fixed_size: 0
    .sgpr_count:     18
    .sgpr_spill_count: 0
    .symbol:         _ZN2ck17naive_gemm_kernelINS_13tensor_layout4gemm8RowMajorES3_S3_DF16_DF16_DF16_fNS_16tensor_operation12element_wise11PassThroughES6_S6_DF16_DF16_EEvPKT2_PKT3_PT4_iiiT6_T7_T8_.kd
    .uniform_work_group_size: 1
    .uses_dynamic_stack: false
    .vgpr_count:     9
    .vgpr_spill_count: 0
    .wavefront_size: 32
    .workgroup_processor_mode: 1
amdhsa.target:   amdgcn-amd-amdhsa--gfx1100
amdhsa.version:
  - 1
  - 2
...

	.end_amdgpu_metadata
